;; amdgpu-corpus repo=ROCm/aiter kind=harvested arch=n/a opt=n/a

/root/src/amdgpu-assembly/repos/ROCm__aiter/hsa/gfx942/mla/mla_dec_stage1_bf16_a16w16_subQ16_mqa16_ps.co:	file format elf64-amdgpu

Disassembly of section .text:

0000000000002200 <_ZN5aiter42mla_dec_stage1_bf16_a16w16_subQ16_mqa16_psE>:
	s_and_b32 s1, s1, 0xffff                                   // 000000002200: 8601FF01 0000FFFF
	s_load_dwordx2 s[28:29], s[0:1], 0xe0                      // 000000002208: C0060700 000000E0
	v_lshrrev_b32_e32 v1, 10, v0                               // 000000002210: 2002008A
	v_lshrrev_b32_e32 v2, 10, v1                               // 000000002214: 2004028A
	v_and_b32_e32 v2, 0x3ff, v2                                // 000000002218: 260404FF 000003FF
	v_and_b32_e32 v1, 0x3ff, v1                                // 000000002220: 260202FF 000003FF
	v_and_b32_e32 v0, 0x3ff, v0                                // 000000002228: 260000FF 000003FF
	v_lshrrev_b32_e32 v3, 6, v0                                // 000000002230: 20060086
	v_and_b32_e32 v0, 63, v0                                   // 000000002234: 260000BF
	s_mov_b32 s2, s2                                           // 000000002238: BE820002
	s_mov_b32 s3, s3                                           // 00000000223C: BE830003
	s_mov_b32 s4, s4                                           // 000000002240: BE840004
	v_readfirstlane_b32 s7, v3                                 // 000000002244: 7E0E0503
	s_waitcnt lgkmcnt(0)                                       // 000000002248: BF8CC07F
	s_and_b32 s29, s29, 0xffff                                 // 00000000224C: 861DFF1D 0000FFFF
	s_load_dwordx2 s[32:33], s[28:29], 0x0                     // 000000002254: C006080E 00000000
	s_load_dwordx2 s[30:31], s[28:29], 0x8                     // 00000000225C: C006078E 00000008
	s_waitcnt lgkmcnt(0)                                       // 000000002264: BF8CC07F
	s_mul_i32 s56, s2, 4                                       // 000000002268: 92388402
	s_and_b32 s33, s33, 0xffff                                 // 00000000226C: 8621FF21 0000FFFF
	s_add_u32 s32, s56, s32                                    // 000000002274: 80202038
	s_addc_u32 s33, 0, s33                                     // 000000002278: 82212180
	s_load_dword s85, s[32:33], 0x0                            // 00000000227C: C0021550 00000000
	s_load_dword s86, s[32:33], 0x4                            // 000000002284: C0021590 00000004
	s_and_b32 s31, s31, 0xffff                                 // 00000000228C: 861FFF1F 0000FFFF
	s_waitcnt lgkmcnt(0)                                       // 000000002294: BF8CC07F
	s_cmp_eq_i32 s85, s86                                      // 000000002298: BF005655
	s_cbranch_scc1 label_1729                                  // 00000000229C: BF8516DF
	s_mul_i32 s56, s85, 32                                     // 0000000022A0: 9238A055

00000000000022a4 <label_0029>:
	s_waitcnt vmcnt(0) expcnt(0) lgkmcnt(0)                    // 0000000022A4: BF8C0000
	s_barrier                                                  // 0000000022A8: BF8A0000
	s_add_u32 s30, s56, s30                                    // 0000000022AC: 801E1E38
	s_addc_u32 s31, 0, s31                                     // 0000000022B0: 821F1F80
	s_load_dword s87, s[30:31], 0x4                            // 0000000022B4: C00215CF 00000004
	s_load_dword s78, s[30:31], 0x8                            // 0000000022BC: C002138F 00000008
	s_load_dword s79, s[30:31], 0xc                            // 0000000022C4: C00213CF 0000000C
	s_load_dword s47, s[30:31], 0x10                           // 0000000022CC: C0020BCF 00000010
	s_load_dword s46, s[30:31], 0x14                           // 0000000022D4: C0020B8F 00000014
	s_load_dword s77, s[30:31], 0x18                           // 0000000022DC: C002134F 00000018
	s_load_dwordx2 s[8:9], s[0:1], 0x0                         // 0000000022E4: C0060200 00000000
	s_load_dwordx2 s[12:13], s[0:1], 0x10                      // 0000000022EC: C0060300 00000010
	s_load_dwordx2 s[16:17], s[0:1], 0x20                      // 0000000022F4: C0060400 00000020
	s_load_dwordx2 s[20:21], s[0:1], 0x30                      // 0000000022FC: C0060500 00000030
	s_load_dwordx2 s[24:25], s[0:1], 0x50                      // 000000002304: C0060600 00000050
	s_load_dword s64, s[0:1], 0x70                             // 00000000230C: C0021000 00000070
	s_load_dword s65, s[0:1], 0x80                             // 000000002314: C0021040 00000080
	s_load_dword s67, s[0:1], 0x90                             // 00000000231C: C00210C0 00000090
	s_load_dword s68, s[0:1], 0xb0                             // 000000002324: C0021100 000000B0
	s_load_dword s69, s[0:1], 0xc0                             // 00000000232C: C0021140 000000C0
	s_load_dwordx2 s[88:89], s[0:1], 0xf0                      // 000000002334: C0061600 000000F0
	s_waitcnt lgkmcnt(0)                                       // 00000000233C: BF8CC07F
	s_min_u32 s76, 16, s65                                     // 000000002340: 83CC4190
	s_mov_b32 s66, 8                                           // 000000002344: BEC20088
	s_mul_i32 s75, 0x800, s65                                  // 000000002348: 924B41FF 00000800
	s_mul_i32 s74, 0x480, s65                                  // 000000002350: 924A41FF 00000480
	s_mul_i32 s56, 4, s65                                      // 000000002358: 92384184
	s_mul_i32 s57, 0x400, s65                                  // 00000000235C: 923941FF 00000400
	s_mov_b32 s10, s75                                         // 000000002364: BE8A004B
	s_mov_b32 s18, s74                                         // 000000002368: BE92004A
	s_mov_b32 s14, s56                                         // 00000000236C: BE8E0038
	s_mov_b32 s22, -16                                         // 000000002370: BE9600D0
	s_mov_b32 s26, -16                                         // 000000002374: BE9A00D0
	s_mov_b32 s90, s57                                         // 000000002378: BEDA0039
	s_mov_b32 s11, 0x20000                                     // 00000000237C: BE8B00FF 00020000
	s_mov_b32 s19, 0x20000                                     // 000000002384: BE9300FF 00020000
	s_mov_b32 s15, 0x20000                                     // 00000000238C: BE8F00FF 00020000
	s_mov_b32 s23, 0x20000                                     // 000000002394: BE9700FF 00020000
	s_mov_b32 s27, 0x20000                                     // 00000000239C: BE9B00FF 00020000
	s_mov_b32 s91, 0x20000                                     // 0000000023A4: BEDB00FF 00020000
	s_and_b32 s9, s9, 0xffff                                   // 0000000023AC: 8609FF09 0000FFFF
	s_and_b32 s17, s17, 0xffff                                 // 0000000023B4: 8611FF11 0000FFFF
	s_and_b32 s13, s13, 0xffff                                 // 0000000023BC: 860DFF0D 0000FFFF
	s_and_b32 s21, s21, 0xffff                                 // 0000000023C4: 8615FF15 0000FFFF
	s_and_b32 s25, s25, 0xffff                                 // 0000000023CC: 8619FF19 0000FFFF
	s_and_b32 s89, s89, 0xffff                                 // 0000000023D4: 8659FF59 0000FFFF
	s_or_b32 s9, s9, 0x40000                                   // 0000000023DC: 8709FF09 00040000
	s_or_b32 s17, s17, 0x40000                                 // 0000000023E4: 8711FF11 00040000
	s_or_b32 s13, s13, 0x40000                                 // 0000000023EC: 870DFF0D 00040000
	s_or_b32 s21, s21, 0x40000                                 // 0000000023F4: 8715FF15 00040000
	s_or_b32 s25, s25, 0x40000                                 // 0000000023FC: 8719FF19 00040000
	s_or_b32 s89, s89, 0x40000                                 // 000000002404: 8759FF59 00040000
	s_waitcnt lgkmcnt(0)                                       // 00000000240C: BF8CC07F
	s_mov_b32 s69, 0                                           // 000000002410: BEC50080
	s_sub_u32 s81, s79, s78                                    // 000000002414: 80D14E4F
	s_mov_b32 s67, 1                                           // 000000002418: BEC30081
	s_mov_b32 s80, 0                                           // 00000000241C: BED00080
	s_lshr_b32 s44, 64, s69                                    // 000000002420: 8F2C45C0
	s_mul_i32 s73, s44, 4                                      // 000000002424: 9249842C
	s_mul_i32 s73, s73, s67                                    // 000000002428: 92494349
	s_mul_i32 s45, s4, s44                                     // 00000000242C: 922D2C04
	s_sub_u32 s50, s46, s47                                    // 000000002430: 80B22F2E
	s_lshl_b32 s56, s50, s69                                   // 000000002434: 8E384532
	s_sub_u32 s82, s56, s81                                    // 000000002438: 80D25138
	s_add_u32 s82, s82, s77                                    // 00000000243C: 80524D52
	s_add_u32 s57, s82, s81                                    // 000000002440: 80395152
	s_min_u32 s56, s56, s57                                    // 000000002444: 83B83938
	s_lshr_b32 s50, s56, s69                                   // 000000002448: 8F324538
	s_lshl_b32 s56, s45, s69                                   // 00000000244C: 8E38452D
	s_add_u32 s83, s56, 63                                     // 000000002450: 8053BF38
	s_mul_i32 s84, s67, 64                                     // 000000002454: 9254C043
	s_mul_i32 s75, 0x800, s66                                  // 000000002458: 924B42FF 00000800
	s_mul_i32 s56, s87, s75                                    // 000000002460: 92384B57
	s_add_u32 s8, s56, s8                                      // 000000002464: 80080838
	s_addc_u32 s9, 0, s9                                       // 000000002468: 82090980
	s_mul_i32 s56, s81, s75                                    // 00000000246C: 92384B51
	s_mov_b32 s10, s56                                         // 000000002470: BE8A0038
	s_mul_i32 s56, s7, 0x200                                   // 000000002474: 9238FF07 00000200
	v_lshlrev_b32_e32 v17, 3, v0                               // 00000000247C: 24220083
	v_add_u32_e64 v17, v17, s56                                // 000000002480: D1340011 00007111
	s_mul_i32 s75, 0x400, s66                                  // 000000002488: 924B42FF 00000400
	s_mul_i32 s56, s78, s75                                    // 000000002490: 92384B4E
	s_add_u32 s88, s56, s88                                    // 000000002494: 80585838
	s_addc_u32 s89, 0, s89                                     // 000000002498: 82595980
	s_mul_i32 s56, s81, s75                                    // 00000000249C: 92384B51
	s_mov_b32 s90, s56                                         // 0000000024A0: BEDA0038
	s_mul_i32 s58, 4, s66                                      // 0000000024A4: 923A4284
	s_mul_i32 s56, s87, s58                                    // 0000000024A8: 92383A57
	s_add_u32 s12, s56, s12                                    // 0000000024AC: 800C0C38
	s_addc_u32 s13, 0, s13                                     // 0000000024B0: 820D0D80
	s_mul_i32 s56, s81, s58                                    // 0000000024B4: 92383A51
	s_mov_b32 s14, s56                                         // 0000000024B8: BE8E0038
	v_lshlrev_b32_e32 v16, 2, v0                               // 0000000024BC: 24200082
	s_cmp_le_u32 s50, s45                                      // 0000000024C0: BF0B2D32
	s_cbranch_scc1 label_1725                                  // 0000000024C4: BF851651
	s_mul_i32 s56, s50, 4                                      // 0000000024C8: 92388432
	s_mov_b32 s26, s56                                         // 0000000024CC: BE9A0038
	s_mul_i32 s56, s47, 4                                      // 0000000024D0: 9238842F
	s_add_u32 s24, s56, s24                                    // 0000000024D4: 80181838
	s_addc_u32 s25, 0, s25                                     // 0000000024D8: 82191980
	s_mov_b32 s70, 0                                           // 0000000024DC: BEC60080
	s_sub_u32 s71, s50, s45                                    // 0000000024E0: 80C72D32
	s_mul_i32 s35, s67, s44                                    // 0000000024E4: 92232C43
	s_mov_b32 s34, s71                                         // 0000000024E8: BEA20047
	v_cvt_f32_u32_e32 v32, s35                                 // 0000000024EC: 7E400C23
	s_sub_i32 s56, 0, s35                                      // 0000000024F0: 81B82380
	v_rcp_iflag_f32_e32 v32, v32                               // 0000000024F4: 7E404720
	s_nop 0                                                    // 0000000024F8: BF800000
	v_mul_f32_e32 v32, 0x4f7ffffe, v32                         // 0000000024FC: 0A4040FF 4F7FFFFE
	v_cvt_u32_f32_e32 v32, v32                                 // 000000002504: 7E400F20
	v_mul_lo_u32 v33, s56, v32                                 // 000000002508: D2850021 00024038
	v_mul_hi_u32 v33, v32, v33                                 // 000000002510: D2860021 00024320
	v_add_u32_e32 v32, v32, v33                                // 000000002518: 68404320
	v_mul_hi_u32 v32, s34, v32                                 // 00000000251C: D2860020 00024022
	v_mul_lo_u32 v33, v32, s35                                 // 000000002524: D2850021 00004720
	v_sub_u32_e32 v35, s34, v33                                // 00000000252C: 6A464222
	v_add_u32_e32 v34, 1, v32                                  // 000000002530: 68444081
	v_cmp_le_u32_e32 vcc, s35, v35                             // 000000002534: 7D964623
	v_subrev_u32_e32 v33, s35, v35                             // 000000002538: 6C424623
	s_nop 0                                                    // 00000000253C: BF800000
	v_cndmask_b32_e32 v32, v32, v34, vcc                       // 000000002540: 00404520
	v_cndmask_b32_e32 v35, v35, v33, vcc                       // 000000002544: 00464323
	v_add_u32_e32 v33, 1, v32                                  // 000000002548: 68424081
	v_cmp_le_u32_e32 vcc, s35, v35                             // 00000000254C: 7D964623
	s_nop 1                                                    // 000000002550: BF800001
	v_cndmask_b32_e32 v35, v32, v33, vcc                       // 000000002554: 00464320
	s_nop 3                                                    // 000000002558: BF800003
	v_readfirstlane_b32 s36, v35                               // 00000000255C: 7E480523
	s_nop 3                                                    // 000000002560: BF800003
	s_mov_b32 s71, s36                                         // 000000002564: BEC70024
	s_mul_i32 s56, s71, s35                                    // 000000002568: 92382347
	s_sub_u32 s56, s34, s56                                    // 00000000256C: 80B83822
	s_mov_b32 s57, 0                                           // 000000002570: BEB90080
	s_cmp_lt_u32 s56, s44                                      // 000000002574: BF0A2C38
	s_cselect_b32 s57, s57, 1                                  // 000000002578: 85398139
	s_add_u32 s71, s57, s71                                    // 00000000257C: 80474739
	s_cmpk_eq_u32 s57, 0x1                                     // 000000002580: B4390001
	s_cselect_b32 s49, 0, s56                                  // 000000002584: 85313880
	s_mov_b32 s48, s49                                         // 000000002588: BEB00031
	v_lshrrev_b32_e32 v32, 3, v0                               // 00000000258C: 20400083
	v_and_b32_e32 v33, 1, v32                                  // 000000002590: 26424081
	v_lshlrev_b32_e32 v26, 5, v33                              // 000000002594: 24344285
	v_lshrrev_b32_e32 v32, 1, v32                              // 000000002598: 20404081
	v_lshlrev_b32_e32 v32, 3, v32                              // 00000000259C: 24404083
	v_add_u32_e32 v26, v26, v32                                // 0000000025A0: 6834411A
	v_and_b32_e32 v32, 7, v0                                   // 0000000025A4: 26400087
	v_add_u32_e32 v26, v26, v32                                // 0000000025A8: 6834411A
	v_add_u32_e32 v26, s45, v26                                // 0000000025AC: 6834342D
	v_lshlrev_b32_e32 v26, 2, v26                              // 0000000025B0: 24343482
	buffer_load_dword v24, v26, s[24:27], 0 offen              // 0000000025B4: E0501000 8006181A
	v_add_u32_e32 v26, s73, v26                                // 0000000025BC: 68343449
	buffer_load_dword v25, v26, s[24:27], 0 offen              // 0000000025C0: E0501000 8006191A
	v_add_u32_e32 v26, s73, v26                                // 0000000025C8: 68343449
	s_mul_i32 s56, 0x480, s66                                  // 0000000025CC: 923842FF 00000480
	s_mul_i32 s57, s78, s56                                    // 0000000025D4: 9239384E
	s_add_u32 s16, s57, s16                                    // 0000000025D8: 80101039
	s_addc_u32 s17, 0, s17                                     // 0000000025DC: 82111180
	s_mul_i32 s57, s81, s56                                    // 0000000025E0: 92393851
	s_mov_b32 s18, s57                                         // 0000000025E4: BE920039
	s_mul_i32 s56, s7, 0x1420                                  // 0000000025E8: 9238FF07 00001420
	s_add_u32 m0, 0, s56                                       // 0000000025F0: 807C3880
	s_mul_i32 s56, s7, 0x480                                   // 0000000025F4: 9238FF07 00000480
	v_lshlrev_b32_e32 v32, 2, v0                               // 0000000025FC: 24400082
	v_add_u32_e64 v32, v32, s56                                // 000000002600: D1340020 00007120
	buffer_load_dword v32, s[16:19], 0 offen lds               // 000000002608: E0511000 80040020
	buffer_load_dword v32, s[16:19], 0 offen offset:256 lds    // 000000002610: E0511100 80040020
	buffer_load_dword v32, s[16:19], 0 offen offset:512 lds    // 000000002618: E0511200 80040020
	buffer_load_dword v32, s[16:19], 0 offen offset:768 lds    // 000000002620: E0511300 80040020
	buffer_load_dword v32, s[16:19], 0 offen offset:1024 lds   // 000000002628: E0511400 80040020
	s_add_u32 m0, m0, 0x500                                    // 000000002630: 807CFF7C 00000500
	v_add_u32_e32 v32, 0x1200, v32                             // 000000002638: 684040FF 00001200
	buffer_load_dword v32, s[16:19], 0 offen lds               // 000000002640: E0511000 80040020
	buffer_load_dword v32, s[16:19], 0 offen offset:256 lds    // 000000002648: E0511100 80040020
	buffer_load_dword v32, s[16:19], 0 offen offset:512 lds    // 000000002650: E0511200 80040020
	buffer_load_dword v32, s[16:19], 0 offen offset:768 lds    // 000000002658: E0511300 80040020
	buffer_load_dword v32, s[16:19], 0 offen offset:1024 lds   // 000000002660: E0511400 80040020
	s_add_u32 m0, m0, 0x500                                    // 000000002668: 807CFF7C 00000500
	v_add_u32_e32 v32, 0x1200, v32                             // 000000002670: 684040FF 00001200
	buffer_load_dword v32, s[16:19], 0 offen lds               // 000000002678: E0511000 80040020
	buffer_load_dword v32, s[16:19], 0 offen offset:256 lds    // 000000002680: E0511100 80040020
	buffer_load_dword v32, s[16:19], 0 offen offset:512 lds    // 000000002688: E0511200 80040020
	buffer_load_dword v32, s[16:19], 0 offen offset:768 lds    // 000000002690: E0511300 80040020
	buffer_load_dword v32, s[16:19], 0 offen offset:1024 lds   // 000000002698: E0511400 80040020
	s_add_u32 m0, m0, 0x500                                    // 0000000026A0: 807CFF7C 00000500
	v_add_u32_e32 v32, 0x1200, v32                             // 0000000026A8: 684040FF 00001200
	buffer_load_dword v32, s[16:19], 0 offen lds               // 0000000026B0: E0511000 80040020
	buffer_load_dword v32, s[16:19], 0 offen offset:256 lds    // 0000000026B8: E0511100 80040020
	buffer_load_dword v32, s[16:19], 0 offen offset:512 lds    // 0000000026C0: E0511200 80040020
	buffer_load_dword v32, s[16:19], 0 offen offset:768 lds    // 0000000026C8: E0511300 80040020
	buffer_load_dword v32, s[16:19], 0 offen offset:1024 lds   // 0000000026D0: E0511400 80040020
	s_add_u32 m0, m0, 0x500                                    // 0000000026D8: 807CFF7C 00000500
	v_add_u32_e32 v32, 0x1200, v32                             // 0000000026E0: 684040FF 00001200
	v_mov_b32_e32 v10, s68                                     // 0000000026E8: 7E140244
	s_mov_b32 s52, 0x7060302                                   // 0000000026EC: BEB400FF 07060302
	s_mov_b32 s53, 0x5040100                                   // 0000000026F4: BEB500FF 05040100
	s_mul_i32 s51, s7, 4                                       // 0000000026FC: 92338407
	s_mov_b32 s6, 0x3fb8aa3b                                   // 000000002700: BE8600FF 3FB8AA3B
	v_mov_b32_e32 v33, s6                                      // 000000002708: 7E420206
	v_mov_b32_e32 v32, s64                                     // 00000000270C: 7E400240
	v_mul_f32_e32 v32, s6, v32                                 // 000000002710: 0A404006
	v_rcp_f32_e32 v33, v33                                     // 000000002714: 7E424521
	v_mov_b32_e32 v12, 0xff800000                              // 000000002718: 7E1802FF FF800000
	v_mov_b32_e32 v11, 0xff800000                              // 000000002720: 7E1602FF FF800000
	v_mov_b32_e32 v18, 0                                       // 000000002728: 7E240280
	v_mov_b32_e32 v14, 0                                       // 00000000272C: 7E1C0280
	v_mov_b32_e32 v29, 0xffff0000                              // 000000002730: 7E3A02FF FFFF0000
	v_mov_b32_e32 v30, 0x7fff0000                              // 000000002738: 7E3C02FF 7FFF0000
	v_mov_b32_e32 v31, 0x7fff                                  // 000000002740: 7E3E02FF 00007FFF
	v_readfirstlane_b32 s5, v32                                // 000000002748: 7E0A0520
	v_readfirstlane_b32 s63, v33                               // 00000000274C: 7E7E0521
	v_and_b32_e32 v4, 15, v0                                   // 000000002750: 2608008F
	v_lshlrev_b32_e32 v4, 2, v4                                // 000000002754: 24080882
	v_lshlrev_b32_e32 v5, 2, v0                                // 000000002758: 240A0082
	s_mul_i32 s56, 0x100, s7                                   // 00000000275C: 923807FF 00000100
	v_add_u32_e32 v5, s56, v5                                  // 000000002764: 680A0A38
	v_lshrrev_b32_e32 v32, 4, v0                               // 000000002768: 20400084
	v_lshlrev_b32_e32 v33, 6, v32                              // 00000000276C: 24424086
	v_and_b32_e32 v32, 15, v0                                  // 000000002770: 2640008F
	v_lshlrev_b32_e32 v32, 1, v32                              // 000000002774: 24404081
	v_add_u32_e32 v33, v32, v33                                // 000000002778: 68424320
	v_lshlrev_b32_e32 v6, 2, v33                               // 00000000277C: 240C4282
	v_lshlrev_b32_e32 v32, 3, v0                               // 000000002780: 24400083
	s_mul_i32 s56, 0x200, s7                                   // 000000002784: 923807FF 00000200
	v_add_u32_e64 v7, v32, s56                                 // 00000000278C: D1340007 00007120
	v_and_b32_e32 v32, 15, v0                                  // 000000002794: 2640008F
	v_lshlrev_b32_e32 v2, 4, v32                               // 000000002798: 24044084
	v_lshlrev_b32_e32 v3, 2, v32                               // 00000000279C: 24064082
	s_mul_i32 s56, s7, 0x100                                   // 0000000027A0: 9238FF07 00000100
	v_add_u32_e32 v2, s56, v2                                  // 0000000027A8: 68040438
	s_mul_i32 s56, 4, 0x100                                    // 0000000027AC: 9238FF84 00000100
	v_add_u32_e32 v3, s56, v3                                  // 0000000027B4: 68060638
	s_waitcnt vmcnt(20)                                        // 0000000027B8: BF8C4F74
	v_mul_u32_u24_dpp v40, v24, v10 row_newbcast:0 row_mask:0xf bank_mask:0xf// 0000000027BC: 105014FA FF015018
	v_mul_u32_u24_dpp v41, v24, v10 row_newbcast:1 row_mask:0xf bank_mask:0xf// 0000000027C4: 105214FA FF015118
	v_mul_u32_u24_dpp v42, v24, v10 row_newbcast:2 row_mask:0xf bank_mask:0xf// 0000000027CC: 105414FA FF015218
	v_mul_u32_u24_dpp v43, v24, v10 row_newbcast:3 row_mask:0xf bank_mask:0xf// 0000000027D4: 105614FA FF015318
	v_mul_u32_u24_dpp v44, v24, v10 row_newbcast:4 row_mask:0xf bank_mask:0xf// 0000000027DC: 105814FA FF015418
	v_mul_u32_u24_dpp v45, v24, v10 row_newbcast:5 row_mask:0xf bank_mask:0xf// 0000000027E4: 105A14FA FF015518
	v_mul_u32_u24_dpp v46, v24, v10 row_newbcast:6 row_mask:0xf bank_mask:0xf// 0000000027EC: 105C14FA FF015618
	v_mul_u32_u24_dpp v47, v24, v10 row_newbcast:7 row_mask:0xf bank_mask:0xf// 0000000027F4: 105E14FA FF015718
	v_mul_u32_u24_dpp v48, v24, v10 row_newbcast:8 row_mask:0xf bank_mask:0xf// 0000000027FC: 106014FA FF015818
	v_mul_u32_u24_dpp v49, v24, v10 row_newbcast:9 row_mask:0xf bank_mask:0xf// 000000002804: 106214FA FF015918
	v_mul_u32_u24_dpp v50, v24, v10 row_newbcast:10 row_mask:0xf bank_mask:0xf// 00000000280C: 106414FA FF015A18
	v_mul_u32_u24_dpp v51, v24, v10 row_newbcast:11 row_mask:0xf bank_mask:0xf// 000000002814: 106614FA FF015B18
	v_mul_u32_u24_dpp v52, v24, v10 row_newbcast:12 row_mask:0xf bank_mask:0xf// 00000000281C: 106814FA FF015C18
	v_mul_u32_u24_dpp v53, v24, v10 row_newbcast:13 row_mask:0xf bank_mask:0xf// 000000002824: 106A14FA FF015D18
	v_mul_u32_u24_dpp v54, v24, v10 row_newbcast:14 row_mask:0xf bank_mask:0xf// 00000000282C: 106C14FA FF015E18
	v_mul_u32_u24_dpp v55, v24, v10 row_newbcast:15 row_mask:0xf bank_mask:0xf// 000000002834: 106E14FA FF015F18
	s_mov_b32 s56, m0                                          // 00000000283C: BEB8007C
	s_set_gpr_idx_on s51, gpr_idx(SRC0)                        // 000000002840: BF110133
	v_add_u32_e32 v36, v40, v3                                 // 000000002844: 68480728
	v_add_u32_e32 v37, v41, v3                                 // 000000002848: 684A0729
	v_add_u32_e32 v38, v42, v3                                 // 00000000284C: 684C072A
	v_add_u32_e32 v39, v43, v3                                 // 000000002850: 684E072B
	s_set_gpr_idx_off                                          // 000000002854: BF9C0000
	s_mov_b32 m0, s56                                          // 000000002858: BEFC0038
	v_add_u32_e32 v40, v40, v2                                 // 00000000285C: 68500528
	v_add_u32_e32 v41, v41, v2                                 // 000000002860: 68520529
	v_add_u32_e32 v42, v42, v2                                 // 000000002864: 6854052A
	v_add_u32_e32 v43, v43, v2                                 // 000000002868: 6856052B
	v_add_u32_e32 v44, v44, v2                                 // 00000000286C: 6858052C
	v_add_u32_e32 v45, v45, v2                                 // 000000002870: 685A052D
	v_add_u32_e32 v46, v46, v2                                 // 000000002874: 685C052E
	v_add_u32_e32 v47, v47, v2                                 // 000000002878: 685E052F
	v_add_u32_e32 v48, v48, v2                                 // 00000000287C: 68600530
	v_add_u32_e32 v49, v49, v2                                 // 000000002880: 68620531
	v_add_u32_e32 v50, v50, v2                                 // 000000002884: 68640532
	;; [unrolled: 1-line block ×3, first 2 shown]
	v_add_u32_e32 v52, v52, v2                                 // 00000000288C: 68680534
	v_add_u32_e32 v53, v53, v2                                 // 000000002890: 686A0535
	v_add_u32_e32 v54, v54, v2                                 // 000000002894: 686C0536
	v_add_u32_e32 v55, v55, v2                                 // 000000002898: 686E0537
	buffer_load_dwordx4 v[128:131], v40, s[20:23], 0 offen     // 00000000289C: E05C1000 80058028
	buffer_load_dwordx4 v[132:135], v41, s[20:23], 0 offen     // 0000000028A4: E05C1000 80058429
	buffer_load_dwordx4 v[136:139], v42, s[20:23], 0 offen     // 0000000028AC: E05C1000 8005882A
	buffer_load_dwordx4 v[140:143], v43, s[20:23], 0 offen     // 0000000028B4: E05C1000 80058C2B
	buffer_load_dwordx4 v[144:147], v44, s[20:23], 0 offen     // 0000000028BC: E05C1000 8005902C
	buffer_load_dwordx4 v[148:151], v45, s[20:23], 0 offen     // 0000000028C4: E05C1000 8005942D
	buffer_load_dwordx4 v[152:155], v46, s[20:23], 0 offen     // 0000000028CC: E05C1000 8005982E
	buffer_load_dwordx4 v[156:159], v47, s[20:23], 0 offen     // 0000000028D4: E05C1000 80059C2F
	buffer_load_dwordx4 v[160:163], v48, s[20:23], 0 offen     // 0000000028DC: E05C1000 8005A030
	buffer_load_dwordx4 v[164:167], v49, s[20:23], 0 offen     // 0000000028E4: E05C1000 8005A431
	buffer_load_dwordx4 v[168:171], v50, s[20:23], 0 offen     // 0000000028EC: E05C1000 8005A832
	buffer_load_dwordx4 v[172:175], v51, s[20:23], 0 offen     // 0000000028F4: E05C1000 8005AC33
	buffer_load_dwordx4 v[176:179], v52, s[20:23], 0 offen     // 0000000028FC: E05C1000 8005B034
	buffer_load_dwordx4 v[180:183], v53, s[20:23], 0 offen     // 000000002904: E05C1000 8005B435
	buffer_load_dwordx4 v[184:187], v54, s[20:23], 0 offen     // 00000000290C: E05C1000 8005B836
	buffer_load_dwordx4 v[188:191], v55, s[20:23], 0 offen     // 000000002914: E05C1000 8005BC37
	buffer_load_dword v72, v36, s[20:23], 0 offen              // 00000000291C: E0501000 80054824
	buffer_load_dword v73, v36, s[20:23], 0 offen offset:64    // 000000002924: E0501040 80054924
	buffer_load_dword v74, v37, s[20:23], 0 offen              // 00000000292C: E0501000 80054A25
	buffer_load_dword v75, v37, s[20:23], 0 offen offset:64    // 000000002934: E0501040 80054B25
	buffer_load_dword v76, v38, s[20:23], 0 offen              // 00000000293C: E0501000 80054C26
	buffer_load_dword v77, v38, s[20:23], 0 offen offset:64    // 000000002944: E0501040 80054D26
	buffer_load_dword v78, v39, s[20:23], 0 offen              // 00000000294C: E0501000 80054E27
	buffer_load_dword v79, v39, s[20:23], 0 offen offset:64    // 000000002954: E0501040 80054F27
	buffer_load_dword v24, v26, s[24:27], 0 offen              // 00000000295C: E0501000 8006181A
	v_add_u32_e32 v26, s73, v26                                // 000000002964: 68343449
	v_lshrrev_b32_e32 v32, 4, v0                               // 000000002968: 20400084
	v_lshlrev_b32_e32 v33, 2, v32                              // 00000000296C: 24424082
	v_and_b32_e32 v32, 15, v0                                  // 000000002970: 2640008F
	v_lshrrev_b32_e32 v34, 2, v32                              // 000000002974: 20444082
	v_mul_i32_i24_e32 v34, 0x140, v34                          // 000000002978: 0C4444FF 00000140
	v_add_u32_e32 v33, v34, v33                                // 000000002980: 68424322
	v_and_b32_e32 v32, 3, v0                                   // 000000002984: 26400083
	v_mul_i32_i24_e32 v34, 0x508, v32                          // 000000002988: 0C4440FF 00000508
	v_add_u32_e32 v33, v34, v33                                // 000000002990: 68424322
	v_lshlrev_b32_e32 v1, 2, v33                               // 000000002994: 24024282
	s_waitcnt vmcnt(25) lgkmcnt(0)                             // 000000002998: BF8C4079
	s_barrier                                                  // 00000000299C: BF8A0000
	ds_read_b128 a[0:3], v1                                    // 0000000029A0: DBFE0000 00000001
	ds_read_b128 a[4:7], v1 offset:64                          // 0000000029A8: DBFE0040 04000001
	ds_read_b128 a[8:11], v1 offset:128                        // 0000000029B0: DBFE0080 08000001
	ds_read_b128 a[12:15], v1 offset:192                       // 0000000029B8: DBFE00C0 0C000001
	ds_read_b128 a[16:19], v1 offset:256                       // 0000000029C0: DBFE0100 10000001
	ds_read_b128 a[20:23], v1 offset:320                       // 0000000029C8: DBFE0140 14000001
	ds_read_b128 a[24:27], v1 offset:384                       // 0000000029D0: DBFE0180 18000001
	ds_read_b128 a[28:31], v1 offset:448                       // 0000000029D8: DBFE01C0 1C000001
	ds_read_b128 a[32:35], v1 offset:512                       // 0000000029E0: DBFE0200 20000001
	ds_read_b128 a[36:39], v1 offset:576                       // 0000000029E8: DBFE0240 24000001
	ds_read_b128 a[40:43], v1 offset:640                       // 0000000029F0: DBFE0280 28000001
	ds_read_b128 a[44:47], v1 offset:704                       // 0000000029F8: DBFE02C0 2C000001
	ds_read_b128 a[48:51], v1 offset:768                       // 000000002A00: DBFE0300 30000001
	ds_read_b128 a[52:55], v1 offset:832                       // 000000002A08: DBFE0340 34000001
	ds_read_b128 a[56:59], v1 offset:896                       // 000000002A10: DBFE0380 38000001
	ds_read_b128 a[60:63], v1 offset:960                       // 000000002A18: DBFE03C0 3C000001
	ds_read_b128 a[64:67], v1 offset:1024                      // 000000002A20: DBFE0400 40000001
	ds_read_b128 a[68:71], v1 offset:1088                      // 000000002A28: DBFE0440 44000001
	v_mov_b32_e32 v96, 0                                       // 000000002A30: 7EC00280
	v_mov_b32_e32 v97, 0                                       // 000000002A34: 7EC20280
	v_mov_b32_e32 v98, 0                                       // 000000002A38: 7EC40280
	v_mov_b32_e32 v99, 0                                       // 000000002A3C: 7EC60280
	v_mov_b32_e32 v100, 0                                      // 000000002A40: 7EC80280
	v_mov_b32_e32 v101, 0                                      // 000000002A44: 7ECA0280
	v_mov_b32_e32 v102, 0                                      // 000000002A48: 7ECC0280
	v_mov_b32_e32 v103, 0                                      // 000000002A4C: 7ECE0280
	v_mov_b32_e32 v104, 0                                      // 000000002A50: 7ED00280
	v_mov_b32_e32 v105, 0                                      // 000000002A54: 7ED20280
	v_mov_b32_e32 v106, 0                                      // 000000002A58: 7ED40280
	v_mov_b32_e32 v107, 0                                      // 000000002A5C: 7ED60280
	v_mov_b32_e32 v108, 0                                      // 000000002A60: 7ED80280
	v_mov_b32_e32 v109, 0                                      // 000000002A64: 7EDA0280
	v_mov_b32_e32 v110, 0                                      // 000000002A68: 7EDC0280
	v_mov_b32_e32 v111, 0                                      // 000000002A6C: 7EDE0280
	v_mov_b32_e32 v112, 0                                      // 000000002A70: 7EE00280
	v_mov_b32_e32 v113, 0                                      // 000000002A74: 7EE20280
	v_mov_b32_e32 v114, 0                                      // 000000002A78: 7EE40280
	v_mov_b32_e32 v115, 0                                      // 000000002A7C: 7EE60280
	v_mov_b32_e32 v116, 0                                      // 000000002A80: 7EE80280
	v_mov_b32_e32 v117, 0                                      // 000000002A84: 7EEA0280
	v_mov_b32_e32 v118, 0                                      // 000000002A88: 7EEC0280
	v_mov_b32_e32 v119, 0                                      // 000000002A8C: 7EEE0280
	v_mov_b32_e32 v120, 0                                      // 000000002A90: 7EF00280
	v_mov_b32_e32 v121, 0                                      // 000000002A94: 7EF20280
	v_mov_b32_e32 v122, 0                                      // 000000002A98: 7EF40280
	v_mov_b32_e32 v123, 0                                      // 000000002A9C: 7EF60280
	v_mov_b32_e32 v124, 0                                      // 000000002AA0: 7EF80280
	v_mov_b32_e32 v125, 0                                      // 000000002AA4: 7EFA0280
	v_mov_b32_e32 v126, 0                                      // 000000002AA8: 7EFC0280
	v_mov_b32_e32 v127, 0                                      // 000000002AAC: 7EFE0280
	v_lshrrev_b32_e32 v32, 4, v0                               // 000000002AB0: 20400084
	v_mul_i32_i24_e32 v33, 0x200, v32                          // 000000002AB4: 0C4240FF 00000200
	v_and_b32_e32 v32, 15, v0                                  // 000000002ABC: 2640008F
	v_mul_i32_i24_e32 v34, 4, v32                              // 000000002AC0: 0C444084
	v_add_u32_e32 v20, v34, v33                                // 000000002AC4: 68284322
	s_mul_i32 s56, s7, 64                                      // 000000002AC8: 9238C007
	v_add_u32_e32 v20, s56, v20                                // 000000002ACC: 68282838
	v_lshlrev_b32_e32 v20, 2, v20                              // 000000002AD0: 24282882
	v_lshrrev_b32_e32 v32, 4, v0                               // 000000002AD4: 20400084
	v_mul_i32_i24_e32 v33, 0x110, v32                          // 000000002AD8: 0C4240FF 00000110
	v_and_b32_e32 v34, 15, v0                                  // 000000002AE0: 2644008F
	v_add_u32_e32 v21, v34, v33                                // 000000002AE4: 682A4322
	s_and_b32 s56, 1, s7                                       // 000000002AE8: 86380781
	s_mul_i32 s56, s56, 0x88                                   // 000000002AEC: 9238FF38 00000088
	s_lshr_b32 s57, s7, 1                                      // 000000002AF4: 8F398107
	s_mul_i32 s57, s57, 0x440                                  // 000000002AF8: 9239FF39 00000440
	s_add_u32 s56, s56, s57                                    // 000000002B00: 80383938
	v_add_u32_e32 v21, s56, v21                                // 000000002B04: 682A2A38
	v_lshlrev_b32_e32 v21, 2, v21                              // 000000002B08: 242A2A82
	v_lshrrev_b32_e32 v32, 4, v0                               // 000000002B0C: 20400084
	v_mul_i32_i24_e32 v33, 4, v32                              // 000000002B10: 0C424084
	v_and_b32_e32 v32, 15, v0                                  // 000000002B14: 2640008F
	v_and_b32_e32 v34, 3, v32                                  // 000000002B18: 26444083
	v_mul_i32_i24_e32 v34, 0x808, v34                          // 000000002B1C: 0C4444FF 00000808
	v_add_u32_e32 v22, v34, v33                                // 000000002B24: 682C4322
	v_lshrrev_b32_e32 v32, 2, v32                              // 000000002B28: 20404082
	v_mul_i32_i24_e32 v32, 0x100, v32                          // 000000002B2C: 0C4040FF 00000100
	v_add_u32_e32 v22, v32, v22                                // 000000002B34: 682C2D20
	s_and_b32 s56, 1, s7                                       // 000000002B38: 86380781
	s_mul_i32 s56, s56, 0x400                                  // 000000002B3C: 9238FF38 00000400
	v_add_u32_e32 v22, s56, v22                                // 000000002B44: 682C2C38
	v_lshlrev_b32_e32 v22, 2, v22                              // 000000002B48: 242C2C82
	v_lshrrev_b32_e32 v32, 4, v0                               // 000000002B4C: 20400084
	v_mul_i32_i24_e32 v33, 4, v32                              // 000000002B50: 0C424084
	v_and_b32_e32 v34, 15, v0                                  // 000000002B54: 2644008F
	v_mul_i32_i24_e32 v34, 34, v34                             // 000000002B58: 0C4444A2
	v_add_u32_e32 v23, v34, v33                                // 000000002B5C: 682E4322
	s_mul_i32 s56, s7, 0x220                                   // 000000002B60: 9238FF07 00000220
	v_add_u32_e32 v23, s56, v23                                // 000000002B68: 682E2E38
	v_lshlrev_b32_e32 v23, 2, v23                              // 000000002B6C: 242E2E82
	v_mul_u32_u24_dpp v40, v25, v10 row_newbcast:0 row_mask:0xf bank_mask:0xf// 000000002B70: 105014FA FF015019
	v_mul_u32_u24_dpp v41, v25, v10 row_newbcast:1 row_mask:0xf bank_mask:0xf// 000000002B78: 105214FA FF015119
	v_mul_u32_u24_dpp v42, v25, v10 row_newbcast:2 row_mask:0xf bank_mask:0xf// 000000002B80: 105414FA FF015219
	v_mul_u32_u24_dpp v43, v25, v10 row_newbcast:3 row_mask:0xf bank_mask:0xf// 000000002B88: 105614FA FF015319
	v_mul_u32_u24_dpp v44, v25, v10 row_newbcast:4 row_mask:0xf bank_mask:0xf// 000000002B90: 105814FA FF015419
	v_mul_u32_u24_dpp v45, v25, v10 row_newbcast:5 row_mask:0xf bank_mask:0xf// 000000002B98: 105A14FA FF015519
	v_mul_u32_u24_dpp v46, v25, v10 row_newbcast:6 row_mask:0xf bank_mask:0xf// 000000002BA0: 105C14FA FF015619
	v_mul_u32_u24_dpp v47, v25, v10 row_newbcast:7 row_mask:0xf bank_mask:0xf// 000000002BA8: 105E14FA FF015719
	v_mul_u32_u24_dpp v48, v25, v10 row_newbcast:8 row_mask:0xf bank_mask:0xf// 000000002BB0: 106014FA FF015819
	v_mul_u32_u24_dpp v49, v25, v10 row_newbcast:9 row_mask:0xf bank_mask:0xf// 000000002BB8: 106214FA FF015919
	v_mul_u32_u24_dpp v50, v25, v10 row_newbcast:10 row_mask:0xf bank_mask:0xf// 000000002BC0: 106414FA FF015A19
	v_mul_u32_u24_dpp v51, v25, v10 row_newbcast:11 row_mask:0xf bank_mask:0xf// 000000002BC8: 106614FA FF015B19
	v_mul_u32_u24_dpp v52, v25, v10 row_newbcast:12 row_mask:0xf bank_mask:0xf// 000000002BD0: 106814FA FF015C19
	v_mul_u32_u24_dpp v53, v25, v10 row_newbcast:13 row_mask:0xf bank_mask:0xf// 000000002BD8: 106A14FA FF015D19
	v_mul_u32_u24_dpp v54, v25, v10 row_newbcast:14 row_mask:0xf bank_mask:0xf// 000000002BE0: 106C14FA FF015E19
	v_mul_u32_u24_dpp v55, v25, v10 row_newbcast:15 row_mask:0xf bank_mask:0xf// 000000002BE8: 106E14FA FF015F19
	s_mov_b32 s56, m0                                          // 000000002BF0: BEB8007C
	s_set_gpr_idx_on s51, gpr_idx(SRC0)                        // 000000002BF4: BF110133
	v_add_u32_e32 v36, v40, v3                                 // 000000002BF8: 68480728
	v_add_u32_e32 v37, v41, v3                                 // 000000002BFC: 684A0729
	v_add_u32_e32 v38, v42, v3                                 // 000000002C00: 684C072A
	v_add_u32_e32 v39, v43, v3                                 // 000000002C04: 684E072B
	s_set_gpr_idx_off                                          // 000000002C08: BF9C0000
	s_mov_b32 m0, s56                                          // 000000002C0C: BEFC0038
	v_add_u32_e32 v40, v40, v2                                 // 000000002C10: 68500528
	v_add_u32_e32 v41, v41, v2                                 // 000000002C14: 68520529
	v_add_u32_e32 v42, v42, v2                                 // 000000002C18: 6854052A
	v_add_u32_e32 v43, v43, v2                                 // 000000002C1C: 6856052B
	v_add_u32_e32 v44, v44, v2                                 // 000000002C20: 6858052C
	v_add_u32_e32 v45, v45, v2                                 // 000000002C24: 685A052D
	v_add_u32_e32 v46, v46, v2                                 // 000000002C28: 685C052E
	v_add_u32_e32 v47, v47, v2                                 // 000000002C2C: 685E052F
	v_add_u32_e32 v48, v48, v2                                 // 000000002C30: 68600530
	v_add_u32_e32 v49, v49, v2                                 // 000000002C34: 68620531
	v_add_u32_e32 v50, v50, v2                                 // 000000002C38: 68640532
	v_add_u32_e32 v51, v51, v2                                 // 000000002C3C: 68660533
	v_add_u32_e32 v52, v52, v2                                 // 000000002C40: 68680534
	v_add_u32_e32 v53, v53, v2                                 // 000000002C44: 686A0535
	v_add_u32_e32 v54, v54, v2                                 // 000000002C48: 686C0536
	v_add_u32_e32 v55, v55, v2                                 // 000000002C4C: 686E0537
	buffer_load_dword v25, v26, s[24:27], 0 offen              // 000000002C50: E0501000 8006191A
	v_add_u32_e32 v26, s73, v26                                // 000000002C58: 68343449
	buffer_load_dwordx4 v[192:195], v40, s[20:23], 0 offen     // 000000002C5C: E05C1000 8005C028
	buffer_load_dwordx4 v[196:199], v41, s[20:23], 0 offen     // 000000002C64: E05C1000 8005C429
	buffer_load_dwordx4 v[200:203], v42, s[20:23], 0 offen     // 000000002C6C: E05C1000 8005C82A
	buffer_load_dwordx4 v[204:207], v43, s[20:23], 0 offen     // 000000002C74: E05C1000 8005CC2B
	buffer_load_dwordx4 v[208:211], v44, s[20:23], 0 offen     // 000000002C7C: E05C1000 8005D02C
	buffer_load_dwordx4 v[212:215], v45, s[20:23], 0 offen     // 000000002C84: E05C1000 8005D42D
	buffer_load_dwordx4 v[216:219], v46, s[20:23], 0 offen     // 000000002C8C: E05C1000 8005D82E
	buffer_load_dwordx4 v[220:223], v47, s[20:23], 0 offen     // 000000002C94: E05C1000 8005DC2F
	buffer_load_dword v80, v36, s[20:23], 0 offen              // 000000002C9C: E0501000 80055024
	buffer_load_dword v81, v36, s[20:23], 0 offen offset:64    // 000000002CA4: E0501040 80055124
	buffer_load_dword v82, v37, s[20:23], 0 offen              // 000000002CAC: E0501000 80055225
	buffer_load_dword v83, v37, s[20:23], 0 offen offset:64    // 000000002CB4: E0501040 80055325
	buffer_load_dword v84, v38, s[20:23], 0 offen              // 000000002CBC: E0501000 80055426
	buffer_load_dword v85, v38, s[20:23], 0 offen offset:64    // 000000002CC4: E0501040 80055526
	buffer_load_dword v86, v39, s[20:23], 0 offen              // 000000002CCC: E0501000 80055627
	buffer_load_dword v87, v39, s[20:23], 0 offen offset:64    // 000000002CD4: E0501040 80055727
	buffer_load_dwordx4 v[224:227], v48, s[20:23], 0 offen     // 000000002CDC: E05C1000 8005E030
	buffer_load_dwordx4 v[228:231], v49, s[20:23], 0 offen     // 000000002CE4: E05C1000 8005E431
	buffer_load_dwordx4 v[232:235], v50, s[20:23], 0 offen     // 000000002CEC: E05C1000 8005E832
	buffer_load_dwordx4 v[236:239], v51, s[20:23], 0 offen     // 000000002CF4: E05C1000 8005EC33
	buffer_load_dwordx4 v[240:243], v52, s[20:23], 0 offen     // 000000002CFC: E05C1000 8005F034
	buffer_load_dwordx4 v[244:247], v53, s[20:23], 0 offen     // 000000002D04: E05C1000 8005F435
	buffer_load_dwordx4 v[248:251], v54, s[20:23], 0 offen     // 000000002D0C: E05C1000 8005F836
	buffer_load_dwordx4 v[252:255], v55, s[20:23], 0 offen     // 000000002D14: E05C1000 8005FC37
	s_waitcnt vmcnt(25) lgkmcnt(0)                             // 000000002D1C: BF8C4079
	s_barrier                                                  // 000000002D20: BF8A0000
	v_mul_u32_u24_dpp v40, v24, v10 row_newbcast:0 row_mask:0xf bank_mask:0xf// 000000002D24: 105014FA FF015018
	v_mul_u32_u24_dpp v41, v24, v10 row_newbcast:1 row_mask:0xf bank_mask:0xf// 000000002D2C: 105214FA FF015118
	v_mul_u32_u24_dpp v42, v24, v10 row_newbcast:2 row_mask:0xf bank_mask:0xf// 000000002D34: 105414FA FF015218
	v_mul_u32_u24_dpp v43, v24, v10 row_newbcast:3 row_mask:0xf bank_mask:0xf// 000000002D3C: 105614FA FF015318
	v_mul_u32_u24_dpp v44, v24, v10 row_newbcast:4 row_mask:0xf bank_mask:0xf// 000000002D44: 105814FA FF015418
	v_mul_u32_u24_dpp v45, v24, v10 row_newbcast:5 row_mask:0xf bank_mask:0xf// 000000002D4C: 105A14FA FF015518
	v_mul_u32_u24_dpp v46, v24, v10 row_newbcast:6 row_mask:0xf bank_mask:0xf// 000000002D54: 105C14FA FF015618
	v_mul_u32_u24_dpp v47, v24, v10 row_newbcast:7 row_mask:0xf bank_mask:0xf// 000000002D5C: 105E14FA FF015718
	v_mul_u32_u24_dpp v48, v24, v10 row_newbcast:8 row_mask:0xf bank_mask:0xf// 000000002D64: 106014FA FF015818
	v_mul_u32_u24_dpp v49, v24, v10 row_newbcast:9 row_mask:0xf bank_mask:0xf// 000000002D6C: 106214FA FF015918
	v_mul_u32_u24_dpp v50, v24, v10 row_newbcast:10 row_mask:0xf bank_mask:0xf// 000000002D74: 106414FA FF015A18
	v_mul_u32_u24_dpp v51, v24, v10 row_newbcast:11 row_mask:0xf bank_mask:0xf// 000000002D7C: 106614FA FF015B18
	v_mul_u32_u24_dpp v52, v24, v10 row_newbcast:12 row_mask:0xf bank_mask:0xf// 000000002D84: 106814FA FF015C18
	v_mul_u32_u24_dpp v53, v24, v10 row_newbcast:13 row_mask:0xf bank_mask:0xf// 000000002D8C: 106A14FA FF015D18
	v_mul_u32_u24_dpp v54, v24, v10 row_newbcast:14 row_mask:0xf bank_mask:0xf// 000000002D94: 106C14FA FF015E18
	v_mul_u32_u24_dpp v55, v24, v10 row_newbcast:15 row_mask:0xf bank_mask:0xf// 000000002D9C: 106E14FA FF015F18
	s_mov_b32 s56, m0                                          // 000000002DA4: BEB8007C
	s_set_gpr_idx_on s51, gpr_idx(SRC0)                        // 000000002DA8: BF110133
	v_add_u32_e32 v36, v40, v3                                 // 000000002DAC: 68480728
	v_add_u32_e32 v37, v41, v3                                 // 000000002DB0: 684A0729
	v_add_u32_e32 v38, v42, v3                                 // 000000002DB4: 684C072A
	v_add_u32_e32 v39, v43, v3                                 // 000000002DB8: 684E072B
	s_set_gpr_idx_off                                          // 000000002DBC: BF9C0000
	s_mov_b32 m0, s56                                          // 000000002DC0: BEFC0038
	v_add_u32_e32 v40, v40, v2                                 // 000000002DC4: 68500528
	v_add_u32_e32 v41, v41, v2                                 // 000000002DC8: 68520529
	v_add_u32_e32 v42, v42, v2                                 // 000000002DCC: 6854052A
	v_add_u32_e32 v43, v43, v2                                 // 000000002DD0: 6856052B
	v_add_u32_e32 v44, v44, v2                                 // 000000002DD4: 6858052C
	v_add_u32_e32 v45, v45, v2                                 // 000000002DD8: 685A052D
	v_add_u32_e32 v46, v46, v2                                 // 000000002DDC: 685C052E
	v_add_u32_e32 v47, v47, v2                                 // 000000002DE0: 685E052F
	v_add_u32_e32 v48, v48, v2                                 // 000000002DE4: 68600530
	v_add_u32_e32 v49, v49, v2                                 // 000000002DE8: 68620531
	v_add_u32_e32 v50, v50, v2                                 // 000000002DEC: 68640532
	v_add_u32_e32 v51, v51, v2                                 // 000000002DF0: 68660533
	v_add_u32_e32 v52, v52, v2                                 // 000000002DF4: 68680534
	v_add_u32_e32 v53, v53, v2                                 // 000000002DF8: 686A0535
	v_add_u32_e32 v54, v54, v2                                 // 000000002DFC: 686C0536
	v_add_u32_e32 v55, v55, v2                                 // 000000002E00: 686E0537
	ds_write_b128 v20, v[128:131]                              // 000000002E04: D9BE0000 00008014
	ds_write_b128 v20, v[132:135] offset:8224                  // 000000002E0C: D9BE2020 00008414
	ds_write_b128 v20, v[136:139] offset:16448                 // 000000002E14: D9BE4040 00008814
	ds_write_b128 v20, v[140:143] offset:24672                 // 000000002E1C: D9BE6060 00008C14
	ds_write_b128 v20, v[144:147] offset:1024                  // 000000002E24: D9BE0400 00009014
	ds_write_b128 v20, v[148:151] offset:9248                  // 000000002E2C: D9BE2420 00009414
	ds_write_b128 v20, v[152:155] offset:17472                 // 000000002E34: D9BE4440 00009814
	ds_write_b128 v20, v[156:159] offset:25696                 // 000000002E3C: D9BE6460 00009C14
	ds_write_b32 v21, v72 offset:32896                         // 000000002E44: D81A8080 00004815
	ds_write_b32 v21, v73 offset:32960                         // 000000002E4C: D81A80C0 00004915
	ds_write_b32 v21, v74 offset:33032                         // 000000002E54: D81A8108 00004A15
	ds_write_b32 v21, v75 offset:33096                         // 000000002E5C: D81A8148 00004B15
	ds_write_b32 v21, v76 offset:33168                         // 000000002E64: D81A8190 00004C15
	ds_write_b32 v21, v77 offset:33232                         // 000000002E6C: D81A81D0 00004D15
	ds_write_b32 v21, v78 offset:33304                         // 000000002E74: D81A8218 00004E15
	ds_write_b32 v21, v79 offset:33368                         // 000000002E7C: D81A8258 00004F15
	s_waitcnt lgkmcnt(0)                                       // 000000002E84: BF8CC07F
	s_barrier                                                  // 000000002E88: BF8A0000
	s_cmp_lt_i32 s7, 2                                         // 000000002E8C: BF048207
	s_cbranch_scc0 label_0345                                  // 000000002E90: BF840020
	ds_read_b128 a[72:75], v22                                 // 000000002E94: DBFE0000 48000016
	ds_read_b128 a[76:79], v22 offset:64                       // 000000002E9C: DBFE0040 4C000016
	ds_read_b128 a[80:83], v22 offset:128                      // 000000002EA4: DBFE0080 50000016
	ds_read_b128 a[84:87], v22 offset:192                      // 000000002EAC: DBFE00C0 54000016
	ds_read_b128 a[88:91], v22 offset:256                      // 000000002EB4: DBFE0100 58000016
	ds_read_b128 a[92:95], v22 offset:320                      // 000000002EBC: DBFE0140 5C000016
	ds_read_b128 a[96:99], v22 offset:384                      // 000000002EC4: DBFE0180 60000016
	ds_read_b128 a[100:103], v22 offset:448                    // 000000002ECC: DBFE01C0 64000016
	ds_read_b128 a[104:107], v22 offset:512                    // 000000002ED4: DBFE0200 68000016
	ds_read_b128 a[108:111], v22 offset:576                    // 000000002EDC: DBFE0240 6C000016
	ds_read_b128 a[112:115], v22 offset:640                    // 000000002EE4: DBFE0280 70000016
	ds_read_b128 a[116:119], v22 offset:704                    // 000000002EEC: DBFE02C0 74000016
	ds_read_b128 a[120:123], v22 offset:768                    // 000000002EF4: DBFE0300 78000016
	ds_read_b128 a[124:127], v22 offset:832                    // 000000002EFC: DBFE0340 7C000016
	ds_read_b128 a[128:131], v22 offset:896                    // 000000002F04: DBFE0380 80000016
	ds_read_b128 a[132:135], v22 offset:960                    // 000000002F0C: DBFE03C0 84000016

0000000000002f14 <label_0345>:
	s_waitcnt lgkmcnt(0)                                       // 000000002F14: BF8CC07F
	s_barrier                                                  // 000000002F18: BF8A0000
	ds_write_b128 v20, v[160:163]                              // 000000002F1C: D9BE0000 0000A014
	ds_write_b128 v20, v[164:167] offset:8224                  // 000000002F24: D9BE2020 0000A414
	ds_write_b128 v20, v[168:171] offset:16448                 // 000000002F2C: D9BE4040 0000A814
	ds_write_b128 v20, v[172:175] offset:24672                 // 000000002F34: D9BE6060 0000AC14
	ds_write_b128 v20, v[176:179] offset:1024                  // 000000002F3C: D9BE0400 0000B014
	ds_write_b128 v20, v[180:183] offset:9248                  // 000000002F44: D9BE2420 0000B414
	ds_write_b128 v20, v[184:187] offset:17472                 // 000000002F4C: D9BE4440 0000B814
	ds_write_b128 v20, v[188:191] offset:25696                 // 000000002F54: D9BE6460 0000BC14
	s_waitcnt lgkmcnt(0)                                       // 000000002F5C: BF8CC07F
	s_barrier                                                  // 000000002F60: BF8A0000
	ds_read_b64 a[136:137], v23 offset:32896                   // 000000002F64: DAEC8080 88000017
	ds_read_b64 a[138:139], v23 offset:32904                   // 000000002F6C: DAEC8088 8A000017
	ds_read_b64 a[140:141], v23 offset:32960                   // 000000002F74: DAEC80C0 8C000017
	ds_read_b64 a[142:143], v23 offset:32968                   // 000000002F7C: DAEC80C8 8E000017
	s_cmp_lt_i32 s7, 2                                         // 000000002F84: BF048207
	s_cbranch_scc1 label_0383                                  // 000000002F88: BF850020
	ds_read_b128 a[72:75], v22                                 // 000000002F8C: DBFE0000 48000016
	ds_read_b128 a[76:79], v22 offset:64                       // 000000002F94: DBFE0040 4C000016
	ds_read_b128 a[80:83], v22 offset:128                      // 000000002F9C: DBFE0080 50000016
	ds_read_b128 a[84:87], v22 offset:192                      // 000000002FA4: DBFE00C0 54000016
	ds_read_b128 a[88:91], v22 offset:256                      // 000000002FAC: DBFE0100 58000016
	ds_read_b128 a[92:95], v22 offset:320                      // 000000002FB4: DBFE0140 5C000016
	ds_read_b128 a[96:99], v22 offset:384                      // 000000002FBC: DBFE0180 60000016
	ds_read_b128 a[100:103], v22 offset:448                    // 000000002FC4: DBFE01C0 64000016
	ds_read_b128 a[104:107], v22 offset:512                    // 000000002FCC: DBFE0200 68000016
	ds_read_b128 a[108:111], v22 offset:576                    // 000000002FD4: DBFE0240 6C000016
	ds_read_b128 a[112:115], v22 offset:640                    // 000000002FDC: DBFE0280 70000016
	ds_read_b128 a[116:119], v22 offset:704                    // 000000002FE4: DBFE02C0 74000016
	ds_read_b128 a[120:123], v22 offset:768                    // 000000002FEC: DBFE0300 78000016
	ds_read_b128 a[124:127], v22 offset:832                    // 000000002FF4: DBFE0340 7C000016
	ds_read_b128 a[128:131], v22 offset:896                    // 000000002FFC: DBFE0380 80000016
	ds_read_b128 a[132:135], v22 offset:960                    // 000000003004: DBFE03C0 84000016

000000000000300c <label_0383>:
	s_waitcnt lgkmcnt(0)                                       // 00000000300C: BF8CC07F
	s_barrier                                                  // 000000003010: BF8A0000
	v_perm_b32 v56, v132, v128, s53                            // 000000003014: D1ED0038 00D70184
	v_perm_b32 v57, v132, v128, s52                            // 00000000301C: D1ED0039 00D30184
	v_perm_b32 v58, v140, v136, s53                            // 000000003024: D1ED003A 00D7118C
	v_perm_b32 v59, v140, v136, s52                            // 00000000302C: D1ED003B 00D3118C
	v_perm_b32 v60, v148, v144, s53                            // 000000003034: D1ED003C 00D72194
	v_perm_b32 v61, v148, v144, s52                            // 00000000303C: D1ED003D 00D32194
	v_perm_b32 v62, v156, v152, s53                            // 000000003044: D1ED003E 00D7319C
	v_perm_b32 v63, v156, v152, s52                            // 00000000304C: D1ED003F 00D3319C
	v_accvgpr_write_b32 a144, v56                              // 000000003054: D3D94090 18000138
	v_accvgpr_write_b32 a152, v57                              // 00000000305C: D3D94098 18000139
	v_accvgpr_write_b32 a145, v58                              // 000000003064: D3D94091 1800013A
	v_accvgpr_write_b32 a153, v59                              // 00000000306C: D3D94099 1800013B
	v_accvgpr_write_b32 a146, v60                              // 000000003074: D3D94092 1800013C
	v_accvgpr_write_b32 a154, v61                              // 00000000307C: D3D9409A 1800013D
	v_accvgpr_write_b32 a147, v62                              // 000000003084: D3D94093 1800013E
	v_accvgpr_write_b32 a155, v63                              // 00000000308C: D3D9409B 1800013F
	v_perm_b32 v56, v164, v160, s53                            // 000000003094: D1ED0038 00D741A4
	v_perm_b32 v57, v164, v160, s52                            // 00000000309C: D1ED0039 00D341A4
	v_perm_b32 v58, v172, v168, s53                            // 0000000030A4: D1ED003A 00D751AC
	v_perm_b32 v59, v172, v168, s52                            // 0000000030AC: D1ED003B 00D351AC
	v_perm_b32 v60, v180, v176, s53                            // 0000000030B4: D1ED003C 00D761B4
	v_perm_b32 v61, v180, v176, s52                            // 0000000030BC: D1ED003D 00D361B4
	v_perm_b32 v62, v188, v184, s53                            // 0000000030C4: D1ED003E 00D771BC
	v_perm_b32 v63, v188, v184, s52                            // 0000000030CC: D1ED003F 00D371BC
	v_accvgpr_write_b32 a148, v56                              // 0000000030D4: D3D94094 18000138
	v_accvgpr_write_b32 a156, v57                              // 0000000030DC: D3D9409C 18000139
	v_accvgpr_write_b32 a149, v58                              // 0000000030E4: D3D94095 1800013A
	v_accvgpr_write_b32 a157, v59                              // 0000000030EC: D3D9409D 1800013B
	v_accvgpr_write_b32 a150, v60                              // 0000000030F4: D3D94096 1800013C
	v_accvgpr_write_b32 a158, v61                              // 0000000030FC: D3D9409E 1800013D
	v_accvgpr_write_b32 a151, v62                              // 000000003104: D3D94097 1800013E
	v_accvgpr_write_b32 a159, v63                              // 00000000310C: D3D9409F 1800013F
	v_perm_b32 v56, v133, v129, s53                            // 000000003114: D1ED0038 00D70385
	v_perm_b32 v57, v133, v129, s52                            // 00000000311C: D1ED0039 00D30385
	v_perm_b32 v58, v141, v137, s53                            // 000000003124: D1ED003A 00D7138D
	v_perm_b32 v59, v141, v137, s52                            // 00000000312C: D1ED003B 00D3138D
	v_perm_b32 v60, v149, v145, s53                            // 000000003134: D1ED003C 00D72395
	v_perm_b32 v61, v149, v145, s52                            // 00000000313C: D1ED003D 00D32395
	v_perm_b32 v62, v157, v153, s53                            // 000000003144: D1ED003E 00D7339D
	v_perm_b32 v63, v157, v153, s52                            // 00000000314C: D1ED003F 00D3339D
	v_accvgpr_write_b32 a160, v56                              // 000000003154: D3D940A0 18000138
	v_accvgpr_write_b32 a168, v57                              // 00000000315C: D3D940A8 18000139
	v_accvgpr_write_b32 a161, v58                              // 000000003164: D3D940A1 1800013A
	v_accvgpr_write_b32 a169, v59                              // 00000000316C: D3D940A9 1800013B
	v_accvgpr_write_b32 a162, v60                              // 000000003174: D3D940A2 1800013C
	v_accvgpr_write_b32 a170, v61                              // 00000000317C: D3D940AA 1800013D
	v_accvgpr_write_b32 a163, v62                              // 000000003184: D3D940A3 1800013E
	v_accvgpr_write_b32 a171, v63                              // 00000000318C: D3D940AB 1800013F
	v_perm_b32 v56, v165, v161, s53                            // 000000003194: D1ED0038 00D743A5
	v_perm_b32 v57, v165, v161, s52                            // 00000000319C: D1ED0039 00D343A5
	v_perm_b32 v58, v173, v169, s53                            // 0000000031A4: D1ED003A 00D753AD
	v_perm_b32 v59, v173, v169, s52                            // 0000000031AC: D1ED003B 00D353AD
	v_perm_b32 v60, v181, v177, s53                            // 0000000031B4: D1ED003C 00D763B5
	v_perm_b32 v61, v181, v177, s52                            // 0000000031BC: D1ED003D 00D363B5
	v_perm_b32 v62, v189, v185, s53                            // 0000000031C4: D1ED003E 00D773BD
	v_perm_b32 v63, v189, v185, s52                            // 0000000031CC: D1ED003F 00D373BD
	v_accvgpr_write_b32 a164, v56                              // 0000000031D4: D3D940A4 18000138
	v_accvgpr_write_b32 a172, v57                              // 0000000031DC: D3D940AC 18000139
	v_accvgpr_write_b32 a165, v58                              // 0000000031E4: D3D940A5 1800013A
	v_accvgpr_write_b32 a173, v59                              // 0000000031EC: D3D940AD 1800013B
	v_accvgpr_write_b32 a166, v60                              // 0000000031F4: D3D940A6 1800013C
	v_accvgpr_write_b32 a174, v61                              // 0000000031FC: D3D940AE 1800013D
	v_accvgpr_write_b32 a167, v62                              // 000000003204: D3D940A7 1800013E
	v_accvgpr_write_b32 a175, v63                              // 00000000320C: D3D940AF 1800013F
	v_perm_b32 v56, v134, v130, s53                            // 000000003214: D1ED0038 00D70586
	v_perm_b32 v57, v134, v130, s52                            // 00000000321C: D1ED0039 00D30586
	v_perm_b32 v58, v142, v138, s53                            // 000000003224: D1ED003A 00D7158E
	v_perm_b32 v59, v142, v138, s52                            // 00000000322C: D1ED003B 00D3158E
	v_perm_b32 v60, v150, v146, s53                            // 000000003234: D1ED003C 00D72596
	v_perm_b32 v61, v150, v146, s52                            // 00000000323C: D1ED003D 00D32596
	v_perm_b32 v62, v158, v154, s53                            // 000000003244: D1ED003E 00D7359E
	v_perm_b32 v63, v158, v154, s52                            // 00000000324C: D1ED003F 00D3359E
	v_accvgpr_write_b32 a176, v56                              // 000000003254: D3D940B0 18000138
	v_accvgpr_write_b32 a184, v57                              // 00000000325C: D3D940B8 18000139
	v_accvgpr_write_b32 a177, v58                              // 000000003264: D3D940B1 1800013A
	v_accvgpr_write_b32 a185, v59                              // 00000000326C: D3D940B9 1800013B
	v_accvgpr_write_b32 a178, v60                              // 000000003274: D3D940B2 1800013C
	v_accvgpr_write_b32 a186, v61                              // 00000000327C: D3D940BA 1800013D
	v_accvgpr_write_b32 a179, v62                              // 000000003284: D3D940B3 1800013E
	v_accvgpr_write_b32 a187, v63                              // 00000000328C: D3D940BB 1800013F
	v_perm_b32 v56, v166, v162, s53                            // 000000003294: D1ED0038 00D745A6
	v_perm_b32 v57, v166, v162, s52                            // 00000000329C: D1ED0039 00D345A6
	v_perm_b32 v58, v174, v170, s53                            // 0000000032A4: D1ED003A 00D755AE
	v_perm_b32 v59, v174, v170, s52                            // 0000000032AC: D1ED003B 00D355AE
	v_perm_b32 v60, v182, v178, s53                            // 0000000032B4: D1ED003C 00D765B6
	v_perm_b32 v61, v182, v178, s52                            // 0000000032BC: D1ED003D 00D365B6
	v_perm_b32 v62, v190, v186, s53                            // 0000000032C4: D1ED003E 00D775BE
	v_perm_b32 v63, v190, v186, s52                            // 0000000032CC: D1ED003F 00D375BE
	v_accvgpr_write_b32 a180, v56                              // 0000000032D4: D3D940B4 18000138
	v_accvgpr_write_b32 a188, v57                              // 0000000032DC: D3D940BC 18000139
	v_accvgpr_write_b32 a181, v58                              // 0000000032E4: D3D940B5 1800013A
	v_accvgpr_write_b32 a189, v59                              // 0000000032EC: D3D940BD 1800013B
	v_accvgpr_write_b32 a182, v60                              // 0000000032F4: D3D940B6 1800013C
	v_accvgpr_write_b32 a190, v61                              // 0000000032FC: D3D940BE 1800013D
	v_accvgpr_write_b32 a183, v62                              // 000000003304: D3D940B7 1800013E
	v_accvgpr_write_b32 a191, v63                              // 00000000330C: D3D940BF 1800013F
	v_perm_b32 v56, v135, v131, s53                            // 000000003314: D1ED0038 00D70787
	v_perm_b32 v57, v135, v131, s52                            // 00000000331C: D1ED0039 00D30787
	v_perm_b32 v58, v143, v139, s53                            // 000000003324: D1ED003A 00D7178F
	v_perm_b32 v59, v143, v139, s52                            // 00000000332C: D1ED003B 00D3178F
	v_perm_b32 v60, v151, v147, s53                            // 000000003334: D1ED003C 00D72797
	v_perm_b32 v61, v151, v147, s52                            // 00000000333C: D1ED003D 00D32797
	v_perm_b32 v62, v159, v155, s53                            // 000000003344: D1ED003E 00D7379F
	v_perm_b32 v63, v159, v155, s52                            // 00000000334C: D1ED003F 00D3379F
	v_accvgpr_write_b32 a192, v56                              // 000000003354: D3D940C0 18000138
	v_accvgpr_write_b32 a200, v57                              // 00000000335C: D3D940C8 18000139
	v_accvgpr_write_b32 a193, v58                              // 000000003364: D3D940C1 1800013A
	v_accvgpr_write_b32 a201, v59                              // 00000000336C: D3D940C9 1800013B
	v_accvgpr_write_b32 a194, v60                              // 000000003374: D3D940C2 1800013C
	v_accvgpr_write_b32 a202, v61                              // 00000000337C: D3D940CA 1800013D
	v_accvgpr_write_b32 a195, v62                              // 000000003384: D3D940C3 1800013E
	v_accvgpr_write_b32 a203, v63                              // 00000000338C: D3D940CB 1800013F
	v_perm_b32 v56, v167, v163, s53                            // 000000003394: D1ED0038 00D747A7
	v_perm_b32 v57, v167, v163, s52                            // 00000000339C: D1ED0039 00D347A7
	v_perm_b32 v58, v175, v171, s53                            // 0000000033A4: D1ED003A 00D757AF
	v_perm_b32 v59, v175, v171, s52                            // 0000000033AC: D1ED003B 00D357AF
	v_perm_b32 v60, v183, v179, s53                            // 0000000033B4: D1ED003C 00D767B7
	v_perm_b32 v61, v183, v179, s52                            // 0000000033BC: D1ED003D 00D367B7
	v_perm_b32 v62, v191, v187, s53                            // 0000000033C4: D1ED003E 00D777BF
	v_perm_b32 v63, v191, v187, s52                            // 0000000033CC: D1ED003F 00D377BF
	v_accvgpr_write_b32 a196, v56                              // 0000000033D4: D3D940C4 18000138
	v_accvgpr_write_b32 a204, v57                              // 0000000033DC: D3D940CC 18000139
	v_accvgpr_write_b32 a197, v58                              // 0000000033E4: D3D940C5 1800013A
	v_accvgpr_write_b32 a205, v59                              // 0000000033EC: D3D940CD 1800013B
	v_accvgpr_write_b32 a198, v60                              // 0000000033F4: D3D940C6 1800013C
	v_accvgpr_write_b32 a206, v61                              // 0000000033FC: D3D940CE 1800013D
	v_accvgpr_write_b32 a199, v62                              // 000000003404: D3D940C7 1800013E
	v_accvgpr_write_b32 a207, v63                              // 00000000340C: D3D940CF 1800013F
	s_cmp_lt_u32 s71, 1                                        // 000000003414: BF0A8147
	s_cbranch_scc1 label_10F8                                  // 000000003418: BF850C71
	s_cmp_lt_i32 s7, 2                                         // 00000000341C: BF048207
	s_cbranch_scc0 label_0AC1                                  // 000000003420: BF840638

0000000000003424 <label_0489>:
	s_waitcnt vmcnt(8) lgkmcnt(0)                              // 000000003424: BF8C0078
	s_barrier                                                  // 000000003428: BF8A0000
	v_mfma_f32_16x16x16_bf16 v[88:91], a[72:73], a[0:1], 0     // 00000000342C: D3E10058 1A020148
	ds_write_b128 v20, v[192:195]                              // 000000003434: D9BE0000 0000C014
	v_mfma_f32_16x16x16_bf16 v[88:91], a[74:75], a[2:3], v[88:91]// 00000000343C: D3E10058 1D62054A
	buffer_load_dwordx4 v[128:131], v40, s[20:23], 0 offen     // 000000003444: E05C1000 80058028
	v_mfma_f32_16x16x16_bf16 v[88:91], a[76:77], a[4:5], v[88:91]// 00000000344C: D3E10058 1D62094C
	ds_write_b128 v20, v[196:199] offset:8224                  // 000000003454: D9BE2020 0000C414
	v_mfma_f32_16x16x16_bf16 v[88:91], a[78:79], a[6:7], v[88:91]// 00000000345C: D3E10058 1D620D4E
	buffer_load_dword v24, v26, s[24:27], 0 offen              // 000000003464: E0501000 8006181A
	v_mfma_f32_16x16x16_bf16 v[88:91], a[80:81], a[8:9], v[88:91]// 00000000346C: D3E10058 1D621150
	ds_write_b128 v20, v[200:203] offset:16448                 // 000000003474: D9BE4040 0000C814
	v_mfma_f32_16x16x16_bf16 v[88:91], a[82:83], a[10:11], v[88:91]// 00000000347C: D3E10058 1D621552
	buffer_load_dwordx4 v[132:135], v41, s[20:23], 0 offen     // 000000003484: E05C1000 80058429
	v_mfma_f32_16x16x16_bf16 v[88:91], a[84:85], a[12:13], v[88:91]// 00000000348C: D3E10058 1D621954
	ds_write_b128 v20, v[204:207] offset:24672                 // 000000003494: D9BE6060 0000CC14
	v_mfma_f32_16x16x16_bf16 v[88:91], a[86:87], a[14:15], v[88:91]// 00000000349C: D3E10058 1D621D56
	v_mfma_f32_16x16x16_bf16 v[88:91], a[88:89], a[16:17], v[88:91]// 0000000034A4: D3E10058 1D622158
	ds_write_b128 v20, v[208:211] offset:1024                  // 0000000034AC: D9BE0400 0000D014
	v_mfma_f32_16x16x16_bf16 v[88:91], a[90:91], a[18:19], v[88:91]// 0000000034B4: D3E10058 1D62255A
	buffer_load_dwordx4 v[136:139], v42, s[20:23], 0 offen     // 0000000034BC: E05C1000 8005882A
	v_mfma_f32_16x16x16_bf16 v[88:91], a[92:93], a[20:21], v[88:91]// 0000000034C4: D3E10058 1D62295C
	ds_write_b128 v20, v[212:215] offset:9248                  // 0000000034CC: D9BE2420 0000D414
	v_mfma_f32_16x16x16_bf16 v[88:91], a[94:95], a[22:23], v[88:91]// 0000000034D4: D3E10058 1D622D5E
	v_mfma_f32_16x16x16_bf16 v[88:91], a[96:97], a[24:25], v[88:91]// 0000000034DC: D3E10058 1D623160
	ds_write_b128 v20, v[216:219] offset:17472                 // 0000000034E4: D9BE4440 0000D814
	v_mfma_f32_16x16x16_bf16 v[88:91], a[98:99], a[26:27], v[88:91]// 0000000034EC: D3E10058 1D623562
	buffer_load_dwordx4 v[140:143], v43, s[20:23], 0 offen     // 0000000034F4: E05C1000 80058C2B
	v_mfma_f32_16x16x16_bf16 v[88:91], a[100:101], a[28:29], v[88:91]// 0000000034FC: D3E10058 1D623964
	ds_write_b128 v20, v[220:223] offset:25696                 // 000000003504: D9BE6460 0000DC14
	v_mfma_f32_16x16x16_bf16 v[88:91], a[102:103], a[30:31], v[88:91]// 00000000350C: D3E10058 1D623D66
	v_mfma_f32_16x16x16_bf16 v[88:91], a[104:105], a[32:33], v[88:91]// 000000003514: D3E10058 1D624168
	ds_write_b32 v21, v80 offset:32896                         // 00000000351C: D81A8080 00005015
	ds_write_b32 v21, v81 offset:32960                         // 000000003524: D81A80C0 00005115
	v_mfma_f32_16x16x16_bf16 v[88:91], a[106:107], a[34:35], v[88:91]// 00000000352C: D3E10058 1D62456A
	buffer_load_dwordx4 v[144:147], v44, s[20:23], 0 offen     // 000000003534: E05C1000 8005902C
	v_mfma_f32_16x16x16_bf16 v[88:91], a[108:109], a[36:37], v[88:91]// 00000000353C: D3E10058 1D62496C
	ds_write_b32 v21, v82 offset:33032                         // 000000003544: D81A8108 00005215
	ds_write_b32 v21, v83 offset:33096                         // 00000000354C: D81A8148 00005315
	v_mfma_f32_16x16x16_bf16 v[88:91], a[110:111], a[38:39], v[88:91]// 000000003554: D3E10058 1D624D6E
	v_mfma_f32_16x16x16_bf16 v[88:91], a[112:113], a[40:41], v[88:91]// 00000000355C: D3E10058 1D625170
	ds_write_b32 v21, v84 offset:33168                         // 000000003564: D81A8190 00005415
	ds_write_b32 v21, v85 offset:33232                         // 00000000356C: D81A81D0 00005515
	v_mfma_f32_16x16x16_bf16 v[88:91], a[114:115], a[42:43], v[88:91]// 000000003574: D3E10058 1D625572
	buffer_load_dwordx4 v[148:151], v45, s[20:23], 0 offen     // 00000000357C: E05C1000 8005942D
	v_mfma_f32_16x16x16_bf16 v[88:91], a[116:117], a[44:45], v[88:91]// 000000003584: D3E10058 1D625974
	ds_write_b32 v21, v86 offset:33304                         // 00000000358C: D81A8218 00005615
	ds_write_b32 v21, v87 offset:33368                         // 000000003594: D81A8258 00005715
	v_mfma_f32_16x16x16_bf16 v[88:91], a[118:119], a[46:47], v[88:91]// 00000000359C: D3E10058 1D625D76
	s_waitcnt lgkmcnt(8)                                       // 0000000035A4: BF8CC87F
	s_barrier                                                  // 0000000035A8: BF8A0000
	v_mfma_f32_16x16x16_bf16 v[88:91], a[120:121], a[48:49], v[88:91]// 0000000035AC: D3E10058 1D626178
	ds_read_b128 a[72:75], v22                                 // 0000000035B4: DBFE0000 48000016
	v_mfma_f32_16x16x16_bf16 v[88:91], a[122:123], a[50:51], v[88:91]// 0000000035BC: D3E10058 1D62657A
	buffer_load_dwordx4 v[152:155], v46, s[20:23], 0 offen     // 0000000035C4: E05C1000 8005982E
	ds_read_b128 a[76:79], v22 offset:64                       // 0000000035CC: DBFE0040 4C000016
	v_mfma_f32_16x16x16_bf16 v[88:91], a[124:125], a[52:53], v[88:91]// 0000000035D4: D3E10058 1D62697C
	ds_read_b128 a[80:83], v22 offset:128                      // 0000000035DC: DBFE0080 50000016
	v_mfma_f32_16x16x16_bf16 v[88:91], a[126:127], a[54:55], v[88:91]// 0000000035E4: D3E10058 1D626D7E
	ds_read_b128 a[84:87], v22 offset:192                      // 0000000035EC: DBFE00C0 54000016
	v_mfma_f32_16x16x16_bf16 v[88:91], a[128:129], a[56:57], v[88:91]// 0000000035F4: D3E10058 1D627180
	ds_read_b128 a[88:91], v22 offset:256                      // 0000000035FC: DBFE0100 58000016
	v_mfma_f32_16x16x16_bf16 v[88:91], a[130:131], a[58:59], v[88:91]// 000000003604: D3E10058 1D627582
	buffer_load_dwordx4 v[156:159], v47, s[20:23], 0 offen     // 00000000360C: E05C1000 80059C2F
	ds_read_b128 a[92:95], v22 offset:320                      // 000000003614: DBFE0140 5C000016
	v_mfma_f32_16x16x16_bf16 v[88:91], a[132:133], a[60:61], v[88:91]// 00000000361C: D3E10058 1D627984
	ds_read_b128 a[96:99], v22 offset:384                      // 000000003624: DBFE0180 60000016
	v_mfma_f32_16x16x16_bf16 v[88:91], a[134:135], a[62:63], v[88:91]// 00000000362C: D3E10058 1D627D86
	ds_read_b128 a[100:103], v22 offset:448                    // 000000003634: DBFE01C0 64000016
	v_mfma_f32_16x16x16_bf16 v[88:91], a[136:137], a[64:65], v[88:91]// 00000000363C: D3E10058 1D628188
	ds_read_b128 a[104:107], v22 offset:512                    // 000000003644: DBFE0200 68000016
	v_mfma_f32_16x16x16_bf16 v[88:91], a[138:139], a[66:67], v[88:91]// 00000000364C: D3E10058 1D62858A
	buffer_load_dword v72, v36, s[20:23], 0 offen              // 000000003654: E0501000 80054824
	buffer_load_dword v73, v36, s[20:23], 0 offen offset:64    // 00000000365C: E0501040 80054924
	ds_read_b128 a[108:111], v22 offset:576                    // 000000003664: DBFE0240 6C000016
	v_mfma_f32_16x16x16_bf16 v[88:91], a[140:141], a[68:69], v[88:91]// 00000000366C: D3E10058 1D62898C
	ds_read_b128 a[112:115], v22 offset:640                    // 000000003674: DBFE0280 70000016
	v_mfma_f32_16x16x16_bf16 v[88:91], a[142:143], a[70:71], v[88:91]// 00000000367C: D3E10058 1D628D8E
	buffer_load_dword v74, v37, s[20:23], 0 offen              // 000000003684: E0501000 80054A25
	buffer_load_dword v75, v37, s[20:23], 0 offen offset:64    // 00000000368C: E0501040 80054B25
	ds_read_b128 a[116:119], v22 offset:704                    // 000000003694: DBFE02C0 74000016
	ds_read_b128 a[120:123], v22 offset:768                    // 00000000369C: DBFE0300 78000016
	ds_read_b128 a[124:127], v22 offset:832                    // 0000000036A4: DBFE0340 7C000016
	ds_read_b128 a[128:131], v22 offset:896                    // 0000000036AC: DBFE0380 80000016
	ds_read_b128 a[132:135], v22 offset:960                    // 0000000036B4: DBFE03C0 84000016
	v_add_u32_e32 v26, s73, v26                                // 0000000036BC: 68343449
	s_cmp_le_i32 s83, s82                                      // 0000000036C0: BF055253
	s_cbranch_scc1 label_0554                                  // 0000000036C4: BF850022
	v_mov_b32_e32 v11, 0xff800000                              // 0000000036C8: 7E1602FF FF800000
	v_lshrrev_b32_e32 v32, 3, v0                               // 0000000036D0: 20400083
	v_and_b32_e32 v32, 1, v32                                  // 0000000036D4: 26404081
	v_add_u32_e32 v32, s82, v32                                // 0000000036D8: 68404052
	s_mul_i32 s57, s7, 16                                      // 0000000036DC: 92399007
	s_sub_u32 s56, s83, 63                                     // 0000000036E0: 80B8BF53
	v_lshrrev_b32_e32 v44, 4, v0                               // 0000000036E4: 20580084
	v_mul_i32_i24_e32 v44, 4, v44                              // 0000000036E8: 0C585884
	v_add_u32_e32 v44, s56, v44                                // 0000000036EC: 68585838
	v_add_u32_e32 v44, s57, v44                                // 0000000036F0: 68585839
	v_add_u32_e32 v45, 1, v44                                  // 0000000036F4: 685A5881
	v_add_u32_e32 v46, 2, v44                                  // 0000000036F8: 685C5882
	v_add_u32_e32 v47, 3, v44                                  // 0000000036FC: 685E5883
	v_cmp_le_u32_e64 s[34:35], v44, v32                        // 000000003700: D0CB0022 0002412C
	s_nop 0                                                    // 000000003708: BF800000
	v_cndmask_b32_e64 v88, v11, v88, s[34:35]                  // 00000000370C: D1000058 008AB10B
	v_cmp_le_u32_e64 s[34:35], v45, v32                        // 000000003714: D0CB0022 0002412D
	s_nop 0                                                    // 00000000371C: BF800000
	v_cndmask_b32_e64 v89, v11, v89, s[34:35]                  // 000000003720: D1000059 008AB30B
	v_cmp_le_u32_e64 s[34:35], v46, v32                        // 000000003728: D0CB0022 0002412E
	s_nop 0                                                    // 000000003730: BF800000
	v_cndmask_b32_e64 v90, v11, v90, s[34:35]                  // 000000003734: D100005A 008AB50B
	v_cmp_le_u32_e64 s[34:35], v47, v32                        // 00000000373C: D0CB0022 0002412F
	s_nop 0                                                    // 000000003744: BF800000
	v_cndmask_b32_e64 v91, v11, v91, s[34:35]                  // 000000003748: D100005B 008AB70B

0000000000003750 <label_0554>:
	buffer_load_dword v76, v38, s[20:23], 0 offen              // 000000003750: E0501000 80054C26
	buffer_load_dword v77, v38, s[20:23], 0 offen offset:64    // 000000003758: E0501040 80054D26
	s_nop 8                                                    // 000000003760: BF800008
	v_mov_b32_e32 v8, v88                                      // 000000003764: 7E100358
	v_max3_f32 v8, v88, v89, v8                                // 000000003768: D1D30008 0422B358
	v_max3_f32 v8, v90, v91, v8                                // 000000003770: D1D30008 0422B75A
	ds_write_b32 v5, v8 offset:41600                           // 000000003778: D81AA280 00000805
	buffer_load_dword v78, v39, s[20:23], 0 offen              // 000000003780: E0501000 80054E27
	buffer_load_dword v79, v39, s[20:23], 0 offen offset:64    // 000000003788: E0501040 80054F27
	s_waitcnt lgkmcnt(0)                                       // 000000003790: BF8CC07F
	s_barrier                                                  // 000000003794: BF8A0000
	ds_read_b32 v56, v4 offset:41600                           // 000000003798: D86CA280 38000004
	buffer_load_dwordx4 v[160:163], v48, s[20:23], 0 offen     // 0000000037A0: E05C1000 8005A030
	ds_read_b32 v57, v4 offset:41664                           // 0000000037A8: D86CA2C0 39000004
	ds_read_b32 v58, v4 offset:41728                           // 0000000037B0: D86CA300 3A000004
	ds_read_b32 v59, v4 offset:41792                           // 0000000037B8: D86CA340 3B000004
	ds_read_b32 v60, v4 offset:41856                           // 0000000037C0: D86CA380 3C000004
	ds_read_b32 v61, v4 offset:41920                           // 0000000037C8: D86CA3C0 3D000004
	ds_read_b32 v62, v4 offset:41984                           // 0000000037D0: D86CA400 3E000004
	ds_read_b32 v63, v4 offset:42048                           // 0000000037D8: D86CA440 3F000004
	ds_read_b32 v64, v4 offset:42112                           // 0000000037E0: D86CA480 40000004
	buffer_load_dwordx4 v[164:167], v49, s[20:23], 0 offen     // 0000000037E8: E05C1000 8005A431
	ds_read_b32 v65, v4 offset:42176                           // 0000000037F0: D86CA4C0 41000004
	ds_read_b32 v66, v4 offset:42240                           // 0000000037F8: D86CA500 42000004
	ds_read_b32 v67, v4 offset:42304                           // 000000003800: D86CA540 43000004
	ds_read_b32 v68, v4 offset:42368                           // 000000003808: D86CA580 44000004
	ds_read_b32 v69, v4 offset:42432                           // 000000003810: D86CA5C0 45000004
	ds_read_b32 v70, v4 offset:42496                           // 000000003818: D86CA600 46000004
	ds_read_b32 v71, v4 offset:42560                           // 000000003820: D86CA640 47000004
	buffer_load_dwordx4 v[168:171], v50, s[20:23], 0 offen     // 000000003828: E05C1000 8005A832
	s_waitcnt lgkmcnt(0)                                       // 000000003830: BF8CC07F
	v_max3_f32 v8, v56, v57, v8                                // 000000003834: D1D30008 04227338
	v_max3_f32 v8, v58, v59, v8                                // 00000000383C: D1D30008 0422773A
	v_max3_f32 v8, v60, v61, v8                                // 000000003844: D1D30008 04227B3C
	v_max3_f32 v8, v62, v63, v8                                // 00000000384C: D1D30008 04227F3E
	v_max3_f32 v8, v64, v65, v8                                // 000000003854: D1D30008 04228340
	v_max3_f32 v8, v66, v67, v8                                // 00000000385C: D1D30008 04228742
	v_max3_f32 v8, v68, v69, v8                                // 000000003864: D1D30008 04228B44
	v_max3_f32 v8, v70, v71, v8                                // 00000000386C: D1D30008 04228F46
	buffer_load_dwordx4 v[172:175], v51, s[20:23], 0 offen     // 000000003874: E05C1000 8005AC33
	v_cmp_eq_u32_e64 s[34:35], v11, v12                        // 00000000387C: D0CA0022 0002190B
	v_max_f32_e32 v13, v8, v12                                 // 000000003884: 161A1908
	v_sub_f32_e32 v18, v12, v13                                // 000000003888: 04241B0C
	v_cndmask_b32_e64 v18, v18, 0, s[34:35]                    // 00000000388C: D1000012 00890112
	v_mov_b32_e32 v12, v13                                     // 000000003894: 7E18030D
	v_mul_f32_e32 v9, s5, v13                                  // 000000003898: 0A121A05
	v_mul_f32_e32 v18, s5, v18                                 // 00000000389C: 0A242405
	v_exp_f32_e32 v18, v18                                     // 0000000038A0: 7E244112
	buffer_load_dwordx4 v[176:179], v52, s[20:23], 0 offen     // 0000000038A4: E05C1000 8005B034
	v_fma_f32 v88, v88, s5, -v9                                // 0000000038AC: D1CB0058 84240B58
	v_fma_f32 v89, v89, s5, -v9                                // 0000000038B4: D1CB0059 84240B59
	v_fma_f32 v90, v90, s5, -v9                                // 0000000038BC: D1CB005A 84240B5A
	v_fma_f32 v91, v91, s5, -v9                                // 0000000038C4: D1CB005B 84240B5B
	v_exp_f32_e32 v88, v88                                     // 0000000038CC: 7EB04158
	v_exp_f32_e32 v89, v89                                     // 0000000038D0: 7EB24159
	v_exp_f32_e32 v90, v90                                     // 0000000038D4: 7EB4415A
	v_exp_f32_e32 v91, v91                                     // 0000000038D8: 7EB6415B
	buffer_load_dwordx4 v[180:183], v53, s[20:23], 0 offen     // 0000000038DC: E05C1000 8005B435
	v_mul_f32_e32 v14, v18, v14                                // 0000000038E4: 0A1C1D12
	v_mov_b32_e32 v15, v88                                     // 0000000038E8: 7E1E0358
	v_add_f32_e32 v15, v89, v15                                // 0000000038EC: 021E1F59
	v_add_f32_e32 v15, v90, v15                                // 0000000038F0: 021E1F5A
	v_add_f32_e32 v15, v91, v15                                // 0000000038F4: 021E1F5B
	v_add_f32_e32 v14, v15, v14                                // 0000000038F8: 021C1D0F
	buffer_load_dwordx4 v[184:187], v54, s[20:23], 0 offen     // 0000000038FC: E05C1000 8005B836
	v_cmp_u_f32_e64 s[34:35], v88, v88                         // 000000003904: D0480022 0002B158
	v_add3_u32 v28, v88, v31, 1                                // 00000000390C: D1FF001C 02063F58
	v_cndmask_b32_e64 v32, v28, v30, s[34:35]                  // 000000003914: D1000020 008A3D1C
	v_cmp_u_f32_e64 s[34:35], v89, v89                         // 00000000391C: D0480022 0002B359
	v_add3_u32 v28, v89, v31, 1                                // 000000003924: D1FF001C 02063F59
	v_cndmask_b32_e64 v33, v28, v30, s[34:35]                  // 00000000392C: D1000021 008A3D1C
	v_perm_b32 v88, v33, v32, s52                              // 000000003934: D1ED0058 00D24121
	v_cmp_u_f32_e64 s[34:35], v90, v90                         // 00000000393C: D0480022 0002B55A
	v_add3_u32 v28, v90, v31, 1                                // 000000003944: D1FF001C 02063F5A
	v_cndmask_b32_e64 v32, v28, v30, s[34:35]                  // 00000000394C: D1000020 008A3D1C
	v_cmp_u_f32_e64 s[34:35], v91, v91                         // 000000003954: D0480022 0002B75B
	v_add3_u32 v28, v91, v31, 1                                // 00000000395C: D1FF001C 02063F5B
	v_cndmask_b32_e64 v33, v28, v30, s[34:35]                  // 000000003964: D1000021 008A3D1C
	v_perm_b32 v89, v33, v32, s52                              // 00000000396C: D1ED0059 00D24121
	ds_write_b64 v7, v[88:89] offset:42624                     // 000000003974: D89AA680 00005807
	buffer_load_dwordx4 v[188:191], v55, s[20:23], 0 offen     // 00000000397C: E05C1000 8005BC37
	s_waitcnt lgkmcnt(0)                                       // 000000003984: BF8CC07F
	s_barrier                                                  // 000000003988: BF8A0000
	ds_read_b64 v[88:89], v6 offset:42624                      // 00000000398C: D8ECA680 58000006
	ds_read_b64 v[90:91], v6 offset:42752                      // 000000003994: D8ECA700 5A000006
	ds_read_b64 v[92:93], v6 offset:43648                      // 00000000399C: D8ECAA80 5C000006
	ds_read_b64 v[94:95], v6 offset:43776                      // 0000000039A4: D8ECAB00 5E000006
	v_mul_u32_u24_dpp v40, v25, v10 row_newbcast:0 row_mask:0xf bank_mask:0xf// 0000000039AC: 105014FA FF015019
	v_mul_u32_u24_dpp v41, v25, v10 row_newbcast:1 row_mask:0xf bank_mask:0xf// 0000000039B4: 105214FA FF015119
	v_mul_u32_u24_dpp v42, v25, v10 row_newbcast:2 row_mask:0xf bank_mask:0xf// 0000000039BC: 105414FA FF015219
	v_mul_u32_u24_dpp v43, v25, v10 row_newbcast:3 row_mask:0xf bank_mask:0xf// 0000000039C4: 105614FA FF015319
	v_mul_u32_u24_dpp v44, v25, v10 row_newbcast:4 row_mask:0xf bank_mask:0xf// 0000000039CC: 105814FA FF015419
	v_mul_u32_u24_dpp v45, v25, v10 row_newbcast:5 row_mask:0xf bank_mask:0xf// 0000000039D4: 105A14FA FF015519
	v_mul_u32_u24_dpp v46, v25, v10 row_newbcast:6 row_mask:0xf bank_mask:0xf// 0000000039DC: 105C14FA FF015619
	v_mul_u32_u24_dpp v47, v25, v10 row_newbcast:7 row_mask:0xf bank_mask:0xf// 0000000039E4: 105E14FA FF015719
	v_mul_u32_u24_dpp v48, v25, v10 row_newbcast:8 row_mask:0xf bank_mask:0xf// 0000000039EC: 106014FA FF015819
	v_mul_u32_u24_dpp v49, v25, v10 row_newbcast:9 row_mask:0xf bank_mask:0xf// 0000000039F4: 106214FA FF015919
	v_mul_u32_u24_dpp v50, v25, v10 row_newbcast:10 row_mask:0xf bank_mask:0xf// 0000000039FC: 106414FA FF015A19
	v_mul_u32_u24_dpp v51, v25, v10 row_newbcast:11 row_mask:0xf bank_mask:0xf// 000000003A04: 106614FA FF015B19
	v_mul_u32_u24_dpp v52, v25, v10 row_newbcast:12 row_mask:0xf bank_mask:0xf// 000000003A0C: 106814FA FF015C19
	v_mul_u32_u24_dpp v53, v25, v10 row_newbcast:13 row_mask:0xf bank_mask:0xf// 000000003A14: 106A14FA FF015D19
	v_mul_u32_u24_dpp v54, v25, v10 row_newbcast:14 row_mask:0xf bank_mask:0xf// 000000003A1C: 106C14FA FF015E19
	v_mul_u32_u24_dpp v55, v25, v10 row_newbcast:15 row_mask:0xf bank_mask:0xf// 000000003A24: 106E14FA FF015F19
	s_mov_b32 s56, m0                                          // 000000003A2C: BEB8007C
	s_set_gpr_idx_on s51, gpr_idx(SRC0)                        // 000000003A30: BF110133
	v_add_u32_e32 v36, v40, v3                                 // 000000003A34: 68480728
	v_add_u32_e32 v37, v41, v3                                 // 000000003A38: 684A0729
	v_add_u32_e32 v38, v42, v3                                 // 000000003A3C: 684C072A
	v_add_u32_e32 v39, v43, v3                                 // 000000003A40: 684E072B
	s_set_gpr_idx_off                                          // 000000003A44: BF9C0000
	s_mov_b32 m0, s56                                          // 000000003A48: BEFC0038
	v_add_u32_e32 v40, v40, v2                                 // 000000003A4C: 68500528
	v_add_u32_e32 v41, v41, v2                                 // 000000003A50: 68520529
	v_add_u32_e32 v42, v42, v2                                 // 000000003A54: 6854052A
	v_add_u32_e32 v43, v43, v2                                 // 000000003A58: 6856052B
	v_add_u32_e32 v44, v44, v2                                 // 000000003A5C: 6858052C
	v_add_u32_e32 v45, v45, v2                                 // 000000003A60: 685A052D
	v_add_u32_e32 v46, v46, v2                                 // 000000003A64: 685C052E
	v_add_u32_e32 v47, v47, v2                                 // 000000003A68: 685E052F
	v_add_u32_e32 v48, v48, v2                                 // 000000003A6C: 68600530
	v_add_u32_e32 v49, v49, v2                                 // 000000003A70: 68620531
	v_add_u32_e32 v50, v50, v2                                 // 000000003A74: 68640532
	v_add_u32_e32 v51, v51, v2                                 // 000000003A78: 68660533
	v_add_u32_e32 v52, v52, v2                                 // 000000003A7C: 68680534
	v_add_u32_e32 v53, v53, v2                                 // 000000003A80: 686A0535
	v_add_u32_e32 v54, v54, v2                                 // 000000003A84: 686C0536
	v_add_u32_e32 v55, v55, v2                                 // 000000003A88: 686E0537
	s_waitcnt lgkmcnt(0)                                       // 000000003A8C: BF8CC07F
	s_add_u32 s83, s84, s83                                    // 000000003A90: 80535354
	v_mul_f32_e32 v96, v18, v96                                // 000000003A94: 0AC0C112
	v_mul_f32_e32 v97, v18, v97                                // 000000003A98: 0AC2C312
	v_mul_f32_e32 v98, v18, v98                                // 000000003A9C: 0AC4C512
	v_mul_f32_e32 v99, v18, v99                                // 000000003AA0: 0AC6C712
	v_mul_f32_e32 v100, v18, v100                              // 000000003AA4: 0AC8C912
	v_mul_f32_e32 v101, v18, v101                              // 000000003AA8: 0ACACB12
	v_mul_f32_e32 v102, v18, v102                              // 000000003AAC: 0ACCCD12
	v_mul_f32_e32 v103, v18, v103                              // 000000003AB0: 0ACECF12
	v_mul_f32_e32 v104, v18, v104                              // 000000003AB4: 0AD0D112
	v_mul_f32_e32 v105, v18, v105                              // 000000003AB8: 0AD2D312
	v_mul_f32_e32 v106, v18, v106                              // 000000003ABC: 0AD4D512
	v_mul_f32_e32 v107, v18, v107                              // 000000003AC0: 0AD6D712
	v_mul_f32_e32 v108, v18, v108                              // 000000003AC4: 0AD8D912
	v_mul_f32_e32 v109, v18, v109                              // 000000003AC8: 0ADADB12
	v_mul_f32_e32 v110, v18, v110                              // 000000003ACC: 0ADCDD12
	v_mul_f32_e32 v111, v18, v111                              // 000000003AD0: 0ADEDF12
	v_mul_f32_e32 v112, v18, v112                              // 000000003AD4: 0AE0E112
	v_mul_f32_e32 v113, v18, v113                              // 000000003AD8: 0AE2E312
	v_mul_f32_e32 v114, v18, v114                              // 000000003ADC: 0AE4E512
	v_mul_f32_e32 v115, v18, v115                              // 000000003AE0: 0AE6E712
	v_mul_f32_e32 v116, v18, v116                              // 000000003AE4: 0AE8E912
	v_mul_f32_e32 v117, v18, v117                              // 000000003AE8: 0AEAEB12
	v_mul_f32_e32 v118, v18, v118                              // 000000003AEC: 0AECED12
	v_mul_f32_e32 v119, v18, v119                              // 000000003AF0: 0AEEEF12
	v_mul_f32_e32 v120, v18, v120                              // 000000003AF4: 0AF0F112
	v_mul_f32_e32 v121, v18, v121                              // 000000003AF8: 0AF2F312
	v_mul_f32_e32 v122, v18, v122                              // 000000003AFC: 0AF4F512
	v_mul_f32_e32 v123, v18, v123                              // 000000003B00: 0AF6F712
	v_mul_f32_e32 v124, v18, v124                              // 000000003B04: 0AF8F912
	v_mul_f32_e32 v125, v18, v125                              // 000000003B08: 0AFAFB12
	v_mul_f32_e32 v126, v18, v126                              // 000000003B0C: 0AFCFD12
	v_mul_f32_e32 v127, v18, v127                              // 000000003B10: 0AFEFF12
	s_waitcnt vmcnt(25)                                        // 000000003B14: BF8C4F79
	v_mfma_f32_16x16x16_bf16 v[96:99], a[144:145], v[88:89], v[96:99]// 000000003B18: D3E10060 0D82B190
	v_mfma_f32_16x16x16_bf16 v[96:99], a[146:147], v[90:91], v[96:99]// 000000003B20: D3E10060 0D82B592
	ds_write_b128 v20, v[224:227]                              // 000000003B28: D9BE0000 0000E014
	v_mfma_f32_16x16x16_bf16 v[96:99], a[148:149], v[92:93], v[96:99]// 000000003B30: D3E10060 0D82B994
	v_mfma_f32_16x16x16_bf16 v[96:99], a[150:151], v[94:95], v[96:99]// 000000003B38: D3E10060 0D82BD96
	ds_write_b128 v20, v[228:231] offset:8224                  // 000000003B40: D9BE2020 0000E414
	v_mfma_f32_16x16x16_bf16 v[100:103], a[152:153], v[88:89], v[100:103]// 000000003B48: D3E10064 0D92B198
	v_mfma_f32_16x16x16_bf16 v[100:103], a[154:155], v[90:91], v[100:103]// 000000003B50: D3E10064 0D92B59A
	ds_write_b128 v20, v[232:235] offset:16448                 // 000000003B58: D9BE4040 0000E814
	v_mfma_f32_16x16x16_bf16 v[100:103], a[156:157], v[92:93], v[100:103]// 000000003B60: D3E10064 0D92B99C
	v_mfma_f32_16x16x16_bf16 v[100:103], a[158:159], v[94:95], v[100:103]// 000000003B68: D3E10064 0D92BD9E
	ds_write_b128 v20, v[236:239] offset:24672                 // 000000003B70: D9BE6060 0000EC14
	v_mfma_f32_16x16x16_bf16 v[104:107], a[160:161], v[88:89], v[104:107]// 000000003B78: D3E10068 0DA2B1A0
	v_mfma_f32_16x16x16_bf16 v[104:107], a[162:163], v[90:91], v[104:107]// 000000003B80: D3E10068 0DA2B5A2
	ds_write_b128 v20, v[240:243] offset:1024                  // 000000003B88: D9BE0400 0000F014
	v_mfma_f32_16x16x16_bf16 v[104:107], a[164:165], v[92:93], v[104:107]// 000000003B90: D3E10068 0DA2B9A4
	v_mfma_f32_16x16x16_bf16 v[104:107], a[166:167], v[94:95], v[104:107]// 000000003B98: D3E10068 0DA2BDA6
	ds_write_b128 v20, v[244:247] offset:9248                  // 000000003BA0: D9BE2420 0000F414
	v_mfma_f32_16x16x16_bf16 v[108:111], a[168:169], v[88:89], v[108:111]// 000000003BA8: D3E1006C 0DB2B1A8
	v_mfma_f32_16x16x16_bf16 v[108:111], a[170:171], v[90:91], v[108:111]// 000000003BB0: D3E1006C 0DB2B5AA
	ds_write_b128 v20, v[248:251] offset:17472                 // 000000003BB8: D9BE4440 0000F814
	v_mfma_f32_16x16x16_bf16 v[108:111], a[172:173], v[92:93], v[108:111]// 000000003BC0: D3E1006C 0DB2B9AC
	v_mfma_f32_16x16x16_bf16 v[108:111], a[174:175], v[94:95], v[108:111]// 000000003BC8: D3E1006C 0DB2BDAE
	ds_write_b128 v20, v[252:255] offset:25696                 // 000000003BD0: D9BE6460 0000FC14
	v_mfma_f32_16x16x16_bf16 v[112:115], a[176:177], v[88:89], v[112:115]// 000000003BD8: D3E10070 0DC2B1B0
	v_mfma_f32_16x16x16_bf16 v[112:115], a[178:179], v[90:91], v[112:115]// 000000003BE0: D3E10070 0DC2B5B2
	ds_read_b64 a[136:137], v23 offset:32896                   // 000000003BE8: DAEC8080 88000017
	ds_read_b64 a[138:139], v23 offset:32904                   // 000000003BF0: DAEC8088 8A000017
	v_mfma_f32_16x16x16_bf16 v[112:115], a[180:181], v[92:93], v[112:115]// 000000003BF8: D3E10070 0DC2B9B4
	v_mfma_f32_16x16x16_bf16 v[112:115], a[182:183], v[94:95], v[112:115]// 000000003C00: D3E10070 0DC2BDB6
	ds_read_b64 a[140:141], v23 offset:32960                   // 000000003C08: DAEC80C0 8C000017
	ds_read_b64 a[142:143], v23 offset:32968                   // 000000003C10: DAEC80C8 8E000017
	s_waitcnt lgkmcnt(8)                                       // 000000003C18: BF8CC87F
	s_barrier                                                  // 000000003C1C: BF8A0000
	v_mfma_f32_16x16x16_bf16 v[116:119], a[184:185], v[88:89], v[116:119]// 000000003C20: D3E10074 0DD2B1B8
	v_mfma_f32_16x16x16_bf16 v[116:119], a[186:187], v[90:91], v[116:119]// 000000003C28: D3E10074 0DD2B5BA
	v_mfma_f32_16x16x16_bf16 v[116:119], a[188:189], v[92:93], v[116:119]// 000000003C30: D3E10074 0DD2B9BC
	v_mfma_f32_16x16x16_bf16 v[116:119], a[190:191], v[94:95], v[116:119]// 000000003C38: D3E10074 0DD2BDBE
	v_mfma_f32_16x16x16_bf16 v[120:123], a[192:193], v[88:89], v[120:123]// 000000003C40: D3E10078 0DE2B1C0
	v_mfma_f32_16x16x16_bf16 v[120:123], a[194:195], v[90:91], v[120:123]// 000000003C48: D3E10078 0DE2B5C2
	v_mfma_f32_16x16x16_bf16 v[120:123], a[196:197], v[92:93], v[120:123]// 000000003C50: D3E10078 0DE2B9C4
	v_mfma_f32_16x16x16_bf16 v[120:123], a[198:199], v[94:95], v[120:123]// 000000003C58: D3E10078 0DE2BDC6
	v_mfma_f32_16x16x16_bf16 v[124:127], a[200:201], v[88:89], v[124:127]// 000000003C60: D3E1007C 0DF2B1C8
	v_mfma_f32_16x16x16_bf16 v[124:127], a[202:203], v[90:91], v[124:127]// 000000003C68: D3E1007C 0DF2B5CA
	v_mfma_f32_16x16x16_bf16 v[124:127], a[204:205], v[92:93], v[124:127]// 000000003C70: D3E1007C 0DF2B9CC
	v_mfma_f32_16x16x16_bf16 v[124:127], a[206:207], v[94:95], v[124:127]// 000000003C78: D3E1007C 0DF2BDCE
	v_perm_b32 v56, v196, v192, s53                            // 000000003C80: D1ED0038 00D781C4
	v_perm_b32 v57, v196, v192, s52                            // 000000003C88: D1ED0039 00D381C4
	v_perm_b32 v58, v204, v200, s53                            // 000000003C90: D1ED003A 00D791CC
	v_perm_b32 v59, v204, v200, s52                            // 000000003C98: D1ED003B 00D391CC
	v_perm_b32 v60, v212, v208, s53                            // 000000003CA0: D1ED003C 00D7A1D4
	v_perm_b32 v61, v212, v208, s52                            // 000000003CA8: D1ED003D 00D3A1D4
	v_perm_b32 v62, v220, v216, s53                            // 000000003CB0: D1ED003E 00D7B1DC
	v_perm_b32 v63, v220, v216, s52                            // 000000003CB8: D1ED003F 00D3B1DC
	v_accvgpr_write_b32 a144, v56                              // 000000003CC0: D3D94090 18000138
	v_accvgpr_write_b32 a152, v57                              // 000000003CC8: D3D94098 18000139
	v_accvgpr_write_b32 a145, v58                              // 000000003CD0: D3D94091 1800013A
	v_accvgpr_write_b32 a153, v59                              // 000000003CD8: D3D94099 1800013B
	v_accvgpr_write_b32 a146, v60                              // 000000003CE0: D3D94092 1800013C
	v_accvgpr_write_b32 a154, v61                              // 000000003CE8: D3D9409A 1800013D
	v_accvgpr_write_b32 a147, v62                              // 000000003CF0: D3D94093 1800013E
	v_accvgpr_write_b32 a155, v63                              // 000000003CF8: D3D9409B 1800013F
	v_perm_b32 v56, v228, v224, s53                            // 000000003D00: D1ED0038 00D7C1E4
	v_perm_b32 v57, v228, v224, s52                            // 000000003D08: D1ED0039 00D3C1E4
	v_perm_b32 v58, v236, v232, s53                            // 000000003D10: D1ED003A 00D7D1EC
	v_perm_b32 v59, v236, v232, s52                            // 000000003D18: D1ED003B 00D3D1EC
	v_perm_b32 v60, v244, v240, s53                            // 000000003D20: D1ED003C 00D7E1F4
	v_perm_b32 v61, v244, v240, s52                            // 000000003D28: D1ED003D 00D3E1F4
	v_perm_b32 v62, v252, v248, s53                            // 000000003D30: D1ED003E 00D7F1FC
	v_perm_b32 v63, v252, v248, s52                            // 000000003D38: D1ED003F 00D3F1FC
	v_accvgpr_write_b32 a148, v56                              // 000000003D40: D3D94094 18000138
	v_accvgpr_write_b32 a156, v57                              // 000000003D48: D3D9409C 18000139
	v_accvgpr_write_b32 a149, v58                              // 000000003D50: D3D94095 1800013A
	v_accvgpr_write_b32 a157, v59                              // 000000003D58: D3D9409D 1800013B
	v_accvgpr_write_b32 a150, v60                              // 000000003D60: D3D94096 1800013C
	v_accvgpr_write_b32 a158, v61                              // 000000003D68: D3D9409E 1800013D
	v_accvgpr_write_b32 a151, v62                              // 000000003D70: D3D94097 1800013E
	v_accvgpr_write_b32 a159, v63                              // 000000003D78: D3D9409F 1800013F
	v_perm_b32 v56, v197, v193, s53                            // 000000003D80: D1ED0038 00D783C5
	v_perm_b32 v57, v197, v193, s52                            // 000000003D88: D1ED0039 00D383C5
	v_perm_b32 v58, v205, v201, s53                            // 000000003D90: D1ED003A 00D793CD
	v_perm_b32 v59, v205, v201, s52                            // 000000003D98: D1ED003B 00D393CD
	v_perm_b32 v60, v213, v209, s53                            // 000000003DA0: D1ED003C 00D7A3D5
	v_perm_b32 v61, v213, v209, s52                            // 000000003DA8: D1ED003D 00D3A3D5
	v_perm_b32 v62, v221, v217, s53                            // 000000003DB0: D1ED003E 00D7B3DD
	v_perm_b32 v63, v221, v217, s52                            // 000000003DB8: D1ED003F 00D3B3DD
	v_accvgpr_write_b32 a160, v56                              // 000000003DC0: D3D940A0 18000138
	v_accvgpr_write_b32 a168, v57                              // 000000003DC8: D3D940A8 18000139
	v_accvgpr_write_b32 a161, v58                              // 000000003DD0: D3D940A1 1800013A
	v_accvgpr_write_b32 a169, v59                              // 000000003DD8: D3D940A9 1800013B
	v_accvgpr_write_b32 a162, v60                              // 000000003DE0: D3D940A2 1800013C
	v_accvgpr_write_b32 a170, v61                              // 000000003DE8: D3D940AA 1800013D
	v_accvgpr_write_b32 a163, v62                              // 000000003DF0: D3D940A3 1800013E
	v_accvgpr_write_b32 a171, v63                              // 000000003DF8: D3D940AB 1800013F
	v_perm_b32 v56, v229, v225, s53                            // 000000003E00: D1ED0038 00D7C3E5
	v_perm_b32 v57, v229, v225, s52                            // 000000003E08: D1ED0039 00D3C3E5
	v_perm_b32 v58, v237, v233, s53                            // 000000003E10: D1ED003A 00D7D3ED
	v_perm_b32 v59, v237, v233, s52                            // 000000003E18: D1ED003B 00D3D3ED
	v_perm_b32 v60, v245, v241, s53                            // 000000003E20: D1ED003C 00D7E3F5
	v_perm_b32 v61, v245, v241, s52                            // 000000003E28: D1ED003D 00D3E3F5
	v_perm_b32 v62, v253, v249, s53                            // 000000003E30: D1ED003E 00D7F3FD
	v_perm_b32 v63, v253, v249, s52                            // 000000003E38: D1ED003F 00D3F3FD
	v_accvgpr_write_b32 a164, v56                              // 000000003E40: D3D940A4 18000138
	v_accvgpr_write_b32 a172, v57                              // 000000003E48: D3D940AC 18000139
	v_accvgpr_write_b32 a165, v58                              // 000000003E50: D3D940A5 1800013A
	v_accvgpr_write_b32 a173, v59                              // 000000003E58: D3D940AD 1800013B
	v_accvgpr_write_b32 a166, v60                              // 000000003E60: D3D940A6 1800013C
	v_accvgpr_write_b32 a174, v61                              // 000000003E68: D3D940AE 1800013D
	v_accvgpr_write_b32 a167, v62                              // 000000003E70: D3D940A7 1800013E
	v_accvgpr_write_b32 a175, v63                              // 000000003E78: D3D940AF 1800013F
	v_perm_b32 v56, v198, v194, s53                            // 000000003E80: D1ED0038 00D785C6
	v_perm_b32 v57, v198, v194, s52                            // 000000003E88: D1ED0039 00D385C6
	v_perm_b32 v58, v206, v202, s53                            // 000000003E90: D1ED003A 00D795CE
	v_perm_b32 v59, v206, v202, s52                            // 000000003E98: D1ED003B 00D395CE
	v_perm_b32 v60, v214, v210, s53                            // 000000003EA0: D1ED003C 00D7A5D6
	v_perm_b32 v61, v214, v210, s52                            // 000000003EA8: D1ED003D 00D3A5D6
	v_perm_b32 v62, v222, v218, s53                            // 000000003EB0: D1ED003E 00D7B5DE
	v_perm_b32 v63, v222, v218, s52                            // 000000003EB8: D1ED003F 00D3B5DE
	v_accvgpr_write_b32 a176, v56                              // 000000003EC0: D3D940B0 18000138
	v_accvgpr_write_b32 a184, v57                              // 000000003EC8: D3D940B8 18000139
	v_accvgpr_write_b32 a177, v58                              // 000000003ED0: D3D940B1 1800013A
	v_accvgpr_write_b32 a185, v59                              // 000000003ED8: D3D940B9 1800013B
	v_accvgpr_write_b32 a178, v60                              // 000000003EE0: D3D940B2 1800013C
	v_accvgpr_write_b32 a186, v61                              // 000000003EE8: D3D940BA 1800013D
	v_accvgpr_write_b32 a179, v62                              // 000000003EF0: D3D940B3 1800013E
	v_accvgpr_write_b32 a187, v63                              // 000000003EF8: D3D940BB 1800013F
	v_perm_b32 v56, v230, v226, s53                            // 000000003F00: D1ED0038 00D7C5E6
	v_perm_b32 v57, v230, v226, s52                            // 000000003F08: D1ED0039 00D3C5E6
	v_perm_b32 v58, v238, v234, s53                            // 000000003F10: D1ED003A 00D7D5EE
	v_perm_b32 v59, v238, v234, s52                            // 000000003F18: D1ED003B 00D3D5EE
	v_perm_b32 v60, v246, v242, s53                            // 000000003F20: D1ED003C 00D7E5F6
	v_perm_b32 v61, v246, v242, s52                            // 000000003F28: D1ED003D 00D3E5F6
	v_perm_b32 v62, v254, v250, s53                            // 000000003F30: D1ED003E 00D7F5FE
	v_perm_b32 v63, v254, v250, s52                            // 000000003F38: D1ED003F 00D3F5FE
	v_accvgpr_write_b32 a180, v56                              // 000000003F40: D3D940B4 18000138
	v_accvgpr_write_b32 a188, v57                              // 000000003F48: D3D940BC 18000139
	v_accvgpr_write_b32 a181, v58                              // 000000003F50: D3D940B5 1800013A
	v_accvgpr_write_b32 a189, v59                              // 000000003F58: D3D940BD 1800013B
	v_accvgpr_write_b32 a182, v60                              // 000000003F60: D3D940B6 1800013C
	v_accvgpr_write_b32 a190, v61                              // 000000003F68: D3D940BE 1800013D
	v_accvgpr_write_b32 a183, v62                              // 000000003F70: D3D940B7 1800013E
	v_accvgpr_write_b32 a191, v63                              // 000000003F78: D3D940BF 1800013F
	v_perm_b32 v56, v199, v195, s53                            // 000000003F80: D1ED0038 00D787C7
	v_perm_b32 v57, v199, v195, s52                            // 000000003F88: D1ED0039 00D387C7
	v_perm_b32 v58, v207, v203, s53                            // 000000003F90: D1ED003A 00D797CF
	v_perm_b32 v59, v207, v203, s52                            // 000000003F98: D1ED003B 00D397CF
	v_perm_b32 v60, v215, v211, s53                            // 000000003FA0: D1ED003C 00D7A7D7
	v_perm_b32 v61, v215, v211, s52                            // 000000003FA8: D1ED003D 00D3A7D7
	v_perm_b32 v62, v223, v219, s53                            // 000000003FB0: D1ED003E 00D7B7DF
	v_perm_b32 v63, v223, v219, s52                            // 000000003FB8: D1ED003F 00D3B7DF
	v_accvgpr_write_b32 a192, v56                              // 000000003FC0: D3D940C0 18000138
	v_accvgpr_write_b32 a200, v57                              // 000000003FC8: D3D940C8 18000139
	v_accvgpr_write_b32 a193, v58                              // 000000003FD0: D3D940C1 1800013A
	v_accvgpr_write_b32 a201, v59                              // 000000003FD8: D3D940C9 1800013B
	v_accvgpr_write_b32 a194, v60                              // 000000003FE0: D3D940C2 1800013C
	v_accvgpr_write_b32 a202, v61                              // 000000003FE8: D3D940CA 1800013D
	v_accvgpr_write_b32 a195, v62                              // 000000003FF0: D3D940C3 1800013E
	v_accvgpr_write_b32 a203, v63                              // 000000003FF8: D3D940CB 1800013F
	v_perm_b32 v56, v231, v227, s53                            // 000000004000: D1ED0038 00D7C7E7
	v_perm_b32 v57, v231, v227, s52                            // 000000004008: D1ED0039 00D3C7E7
	v_perm_b32 v58, v239, v235, s53                            // 000000004010: D1ED003A 00D7D7EF
	v_perm_b32 v59, v239, v235, s52                            // 000000004018: D1ED003B 00D3D7EF
	v_perm_b32 v60, v247, v243, s53                            // 000000004020: D1ED003C 00D7E7F7
	v_perm_b32 v61, v247, v243, s52                            // 000000004028: D1ED003D 00D3E7F7
	v_perm_b32 v62, v255, v251, s53                            // 000000004030: D1ED003E 00D7F7FF
	v_perm_b32 v63, v255, v251, s52                            // 000000004038: D1ED003F 00D3F7FF
	v_accvgpr_write_b32 a196, v56                              // 000000004040: D3D940C4 18000138
	v_accvgpr_write_b32 a204, v57                              // 000000004048: D3D940CC 18000139
	v_accvgpr_write_b32 a197, v58                              // 000000004050: D3D940C5 1800013A
	v_accvgpr_write_b32 a205, v59                              // 000000004058: D3D940CD 1800013B
	v_accvgpr_write_b32 a198, v60                              // 000000004060: D3D940C6 1800013C
	v_accvgpr_write_b32 a206, v61                              // 000000004068: D3D940CE 1800013D
	v_accvgpr_write_b32 a199, v62                              // 000000004070: D3D940C7 1800013E
	v_accvgpr_write_b32 a207, v63                              // 000000004078: D3D940CF 1800013F
	s_addk_i32 s70, 0x1                                        // 000000004080: B7460001
	s_cmp_lt_i32 s70, s71                                      // 000000004084: BF044746
	s_cbranch_scc0 label_0ABE                                  // 000000004088: BF84031B
	s_waitcnt vmcnt(8) lgkmcnt(0)                              // 00000000408C: BF8C0078
	s_barrier                                                  // 000000004090: BF8A0000
	v_mfma_f32_16x16x16_bf16 v[88:91], a[72:73], a[0:1], 0     // 000000004094: D3E10058 1A020148
	ds_write_b128 v20, v[128:131]                              // 00000000409C: D9BE0000 00008014
	v_mfma_f32_16x16x16_bf16 v[88:91], a[74:75], a[2:3], v[88:91]// 0000000040A4: D3E10058 1D62054A
	buffer_load_dwordx4 v[192:195], v40, s[20:23], 0 offen     // 0000000040AC: E05C1000 8005C028
	v_mfma_f32_16x16x16_bf16 v[88:91], a[76:77], a[4:5], v[88:91]// 0000000040B4: D3E10058 1D62094C
	ds_write_b128 v20, v[132:135] offset:8224                  // 0000000040BC: D9BE2020 00008414
	v_mfma_f32_16x16x16_bf16 v[88:91], a[78:79], a[6:7], v[88:91]// 0000000040C4: D3E10058 1D620D4E
	buffer_load_dword v25, v26, s[24:27], 0 offen              // 0000000040CC: E0501000 8006191A
	v_mfma_f32_16x16x16_bf16 v[88:91], a[80:81], a[8:9], v[88:91]// 0000000040D4: D3E10058 1D621150
	ds_write_b128 v20, v[136:139] offset:16448                 // 0000000040DC: D9BE4040 00008814
	v_mfma_f32_16x16x16_bf16 v[88:91], a[82:83], a[10:11], v[88:91]// 0000000040E4: D3E10058 1D621552
	buffer_load_dwordx4 v[196:199], v41, s[20:23], 0 offen     // 0000000040EC: E05C1000 8005C429
	v_mfma_f32_16x16x16_bf16 v[88:91], a[84:85], a[12:13], v[88:91]// 0000000040F4: D3E10058 1D621954
	ds_write_b128 v20, v[140:143] offset:24672                 // 0000000040FC: D9BE6060 00008C14
	v_mfma_f32_16x16x16_bf16 v[88:91], a[86:87], a[14:15], v[88:91]// 000000004104: D3E10058 1D621D56
	v_mfma_f32_16x16x16_bf16 v[88:91], a[88:89], a[16:17], v[88:91]// 00000000410C: D3E10058 1D622158
	ds_write_b128 v20, v[144:147] offset:1024                  // 000000004114: D9BE0400 00009014
	v_mfma_f32_16x16x16_bf16 v[88:91], a[90:91], a[18:19], v[88:91]// 00000000411C: D3E10058 1D62255A
	buffer_load_dwordx4 v[200:203], v42, s[20:23], 0 offen     // 000000004124: E05C1000 8005C82A
	v_mfma_f32_16x16x16_bf16 v[88:91], a[92:93], a[20:21], v[88:91]// 00000000412C: D3E10058 1D62295C
	ds_write_b128 v20, v[148:151] offset:9248                  // 000000004134: D9BE2420 00009414
	v_mfma_f32_16x16x16_bf16 v[88:91], a[94:95], a[22:23], v[88:91]// 00000000413C: D3E10058 1D622D5E
	v_mfma_f32_16x16x16_bf16 v[88:91], a[96:97], a[24:25], v[88:91]// 000000004144: D3E10058 1D623160
	ds_write_b128 v20, v[152:155] offset:17472                 // 00000000414C: D9BE4440 00009814
	v_mfma_f32_16x16x16_bf16 v[88:91], a[98:99], a[26:27], v[88:91]// 000000004154: D3E10058 1D623562
	buffer_load_dwordx4 v[204:207], v43, s[20:23], 0 offen     // 00000000415C: E05C1000 8005CC2B
	v_mfma_f32_16x16x16_bf16 v[88:91], a[100:101], a[28:29], v[88:91]// 000000004164: D3E10058 1D623964
	ds_write_b128 v20, v[156:159] offset:25696                 // 00000000416C: D9BE6460 00009C14
	v_mfma_f32_16x16x16_bf16 v[88:91], a[102:103], a[30:31], v[88:91]// 000000004174: D3E10058 1D623D66
	v_mfma_f32_16x16x16_bf16 v[88:91], a[104:105], a[32:33], v[88:91]// 00000000417C: D3E10058 1D624168
	ds_write_b32 v21, v72 offset:32896                         // 000000004184: D81A8080 00004815
	ds_write_b32 v21, v73 offset:32960                         // 00000000418C: D81A80C0 00004915
	v_mfma_f32_16x16x16_bf16 v[88:91], a[106:107], a[34:35], v[88:91]// 000000004194: D3E10058 1D62456A
	buffer_load_dwordx4 v[208:211], v44, s[20:23], 0 offen     // 00000000419C: E05C1000 8005D02C
	v_mfma_f32_16x16x16_bf16 v[88:91], a[108:109], a[36:37], v[88:91]// 0000000041A4: D3E10058 1D62496C
	ds_write_b32 v21, v74 offset:33032                         // 0000000041AC: D81A8108 00004A15
	ds_write_b32 v21, v75 offset:33096                         // 0000000041B4: D81A8148 00004B15
	v_mfma_f32_16x16x16_bf16 v[88:91], a[110:111], a[38:39], v[88:91]// 0000000041BC: D3E10058 1D624D6E
	v_mfma_f32_16x16x16_bf16 v[88:91], a[112:113], a[40:41], v[88:91]// 0000000041C4: D3E10058 1D625170
	ds_write_b32 v21, v76 offset:33168                         // 0000000041CC: D81A8190 00004C15
	ds_write_b32 v21, v77 offset:33232                         // 0000000041D4: D81A81D0 00004D15
	v_mfma_f32_16x16x16_bf16 v[88:91], a[114:115], a[42:43], v[88:91]// 0000000041DC: D3E10058 1D625572
	buffer_load_dwordx4 v[212:215], v45, s[20:23], 0 offen     // 0000000041E4: E05C1000 8005D42D
	v_mfma_f32_16x16x16_bf16 v[88:91], a[116:117], a[44:45], v[88:91]// 0000000041EC: D3E10058 1D625974
	ds_write_b32 v21, v78 offset:33304                         // 0000000041F4: D81A8218 00004E15
	ds_write_b32 v21, v79 offset:33368                         // 0000000041FC: D81A8258 00004F15
	v_mfma_f32_16x16x16_bf16 v[88:91], a[118:119], a[46:47], v[88:91]// 000000004204: D3E10058 1D625D76
	s_waitcnt lgkmcnt(8)                                       // 00000000420C: BF8CC87F
	s_barrier                                                  // 000000004210: BF8A0000
	v_mfma_f32_16x16x16_bf16 v[88:91], a[120:121], a[48:49], v[88:91]// 000000004214: D3E10058 1D626178
	ds_read_b128 a[72:75], v22                                 // 00000000421C: DBFE0000 48000016
	v_mfma_f32_16x16x16_bf16 v[88:91], a[122:123], a[50:51], v[88:91]// 000000004224: D3E10058 1D62657A
	buffer_load_dwordx4 v[216:219], v46, s[20:23], 0 offen     // 00000000422C: E05C1000 8005D82E
	ds_read_b128 a[76:79], v22 offset:64                       // 000000004234: DBFE0040 4C000016
	v_mfma_f32_16x16x16_bf16 v[88:91], a[124:125], a[52:53], v[88:91]// 00000000423C: D3E10058 1D62697C
	ds_read_b128 a[80:83], v22 offset:128                      // 000000004244: DBFE0080 50000016
	v_mfma_f32_16x16x16_bf16 v[88:91], a[126:127], a[54:55], v[88:91]// 00000000424C: D3E10058 1D626D7E
	ds_read_b128 a[84:87], v22 offset:192                      // 000000004254: DBFE00C0 54000016
	v_mfma_f32_16x16x16_bf16 v[88:91], a[128:129], a[56:57], v[88:91]// 00000000425C: D3E10058 1D627180
	ds_read_b128 a[88:91], v22 offset:256                      // 000000004264: DBFE0100 58000016
	v_mfma_f32_16x16x16_bf16 v[88:91], a[130:131], a[58:59], v[88:91]// 00000000426C: D3E10058 1D627582
	buffer_load_dwordx4 v[220:223], v47, s[20:23], 0 offen     // 000000004274: E05C1000 8005DC2F
	ds_read_b128 a[92:95], v22 offset:320                      // 00000000427C: DBFE0140 5C000016
	v_mfma_f32_16x16x16_bf16 v[88:91], a[132:133], a[60:61], v[88:91]// 000000004284: D3E10058 1D627984
	ds_read_b128 a[96:99], v22 offset:384                      // 00000000428C: DBFE0180 60000016
	v_mfma_f32_16x16x16_bf16 v[88:91], a[134:135], a[62:63], v[88:91]// 000000004294: D3E10058 1D627D86
	ds_read_b128 a[100:103], v22 offset:448                    // 00000000429C: DBFE01C0 64000016
	v_mfma_f32_16x16x16_bf16 v[88:91], a[136:137], a[64:65], v[88:91]// 0000000042A4: D3E10058 1D628188
	ds_read_b128 a[104:107], v22 offset:512                    // 0000000042AC: DBFE0200 68000016
	v_mfma_f32_16x16x16_bf16 v[88:91], a[138:139], a[66:67], v[88:91]// 0000000042B4: D3E10058 1D62858A
	buffer_load_dword v80, v36, s[20:23], 0 offen              // 0000000042BC: E0501000 80055024
	buffer_load_dword v81, v36, s[20:23], 0 offen offset:64    // 0000000042C4: E0501040 80055124
	ds_read_b128 a[108:111], v22 offset:576                    // 0000000042CC: DBFE0240 6C000016
	v_mfma_f32_16x16x16_bf16 v[88:91], a[140:141], a[68:69], v[88:91]// 0000000042D4: D3E10058 1D62898C
	ds_read_b128 a[112:115], v22 offset:640                    // 0000000042DC: DBFE0280 70000016
	v_mfma_f32_16x16x16_bf16 v[88:91], a[142:143], a[70:71], v[88:91]// 0000000042E4: D3E10058 1D628D8E
	buffer_load_dword v82, v37, s[20:23], 0 offen              // 0000000042EC: E0501000 80055225
	buffer_load_dword v83, v37, s[20:23], 0 offen offset:64    // 0000000042F4: E0501040 80055325
	ds_read_b128 a[116:119], v22 offset:704                    // 0000000042FC: DBFE02C0 74000016
	ds_read_b128 a[120:123], v22 offset:768                    // 000000004304: DBFE0300 78000016
	ds_read_b128 a[124:127], v22 offset:832                    // 00000000430C: DBFE0340 7C000016
	ds_read_b128 a[128:131], v22 offset:896                    // 000000004314: DBFE0380 80000016
	ds_read_b128 a[132:135], v22 offset:960                    // 00000000431C: DBFE03C0 84000016
	v_add_u32_e32 v26, s73, v26                                // 000000004324: 68343449
	s_cmp_le_i32 s83, s82                                      // 000000004328: BF055253
	s_cbranch_scc1 label_086E                                  // 00000000432C: BF850022
	v_mov_b32_e32 v11, 0xff800000                              // 000000004330: 7E1602FF FF800000
	v_lshrrev_b32_e32 v32, 3, v0                               // 000000004338: 20400083
	v_and_b32_e32 v32, 1, v32                                  // 00000000433C: 26404081
	v_add_u32_e32 v32, s82, v32                                // 000000004340: 68404052
	s_mul_i32 s57, s7, 16                                      // 000000004344: 92399007
	s_sub_u32 s56, s83, 63                                     // 000000004348: 80B8BF53
	v_lshrrev_b32_e32 v44, 4, v0                               // 00000000434C: 20580084
	v_mul_i32_i24_e32 v44, 4, v44                              // 000000004350: 0C585884
	v_add_u32_e32 v44, s56, v44                                // 000000004354: 68585838
	v_add_u32_e32 v44, s57, v44                                // 000000004358: 68585839
	v_add_u32_e32 v45, 1, v44                                  // 00000000435C: 685A5881
	v_add_u32_e32 v46, 2, v44                                  // 000000004360: 685C5882
	v_add_u32_e32 v47, 3, v44                                  // 000000004364: 685E5883
	v_cmp_le_u32_e64 s[34:35], v44, v32                        // 000000004368: D0CB0022 0002412C
	s_nop 0                                                    // 000000004370: BF800000
	v_cndmask_b32_e64 v88, v11, v88, s[34:35]                  // 000000004374: D1000058 008AB10B
	v_cmp_le_u32_e64 s[34:35], v45, v32                        // 00000000437C: D0CB0022 0002412D
	s_nop 0                                                    // 000000004384: BF800000
	v_cndmask_b32_e64 v89, v11, v89, s[34:35]                  // 000000004388: D1000059 008AB30B
	v_cmp_le_u32_e64 s[34:35], v46, v32                        // 000000004390: D0CB0022 0002412E
	s_nop 0                                                    // 000000004398: BF800000
	v_cndmask_b32_e64 v90, v11, v90, s[34:35]                  // 00000000439C: D100005A 008AB50B
	v_cmp_le_u32_e64 s[34:35], v47, v32                        // 0000000043A4: D0CB0022 0002412F
	s_nop 0                                                    // 0000000043AC: BF800000
	v_cndmask_b32_e64 v91, v11, v91, s[34:35]                  // 0000000043B0: D100005B 008AB70B

00000000000043b8 <label_086E>:
	buffer_load_dword v84, v38, s[20:23], 0 offen              // 0000000043B8: E0501000 80055426
	buffer_load_dword v85, v38, s[20:23], 0 offen offset:64    // 0000000043C0: E0501040 80055526
	s_nop 8                                                    // 0000000043C8: BF800008
	v_mov_b32_e32 v8, v88                                      // 0000000043CC: 7E100358
	v_max3_f32 v8, v88, v89, v8                                // 0000000043D0: D1D30008 0422B358
	v_max3_f32 v8, v90, v91, v8                                // 0000000043D8: D1D30008 0422B75A
	ds_write_b32 v5, v8 offset:41600                           // 0000000043E0: D81AA280 00000805
	buffer_load_dword v86, v39, s[20:23], 0 offen              // 0000000043E8: E0501000 80055627
	buffer_load_dword v87, v39, s[20:23], 0 offen offset:64    // 0000000043F0: E0501040 80055727
	s_waitcnt lgkmcnt(0)                                       // 0000000043F8: BF8CC07F
	s_barrier                                                  // 0000000043FC: BF8A0000
	ds_read_b32 v56, v4 offset:41600                           // 000000004400: D86CA280 38000004
	buffer_load_dwordx4 v[224:227], v48, s[20:23], 0 offen     // 000000004408: E05C1000 8005E030
	ds_read_b32 v57, v4 offset:41664                           // 000000004410: D86CA2C0 39000004
	ds_read_b32 v58, v4 offset:41728                           // 000000004418: D86CA300 3A000004
	ds_read_b32 v59, v4 offset:41792                           // 000000004420: D86CA340 3B000004
	ds_read_b32 v60, v4 offset:41856                           // 000000004428: D86CA380 3C000004
	ds_read_b32 v61, v4 offset:41920                           // 000000004430: D86CA3C0 3D000004
	ds_read_b32 v62, v4 offset:41984                           // 000000004438: D86CA400 3E000004
	ds_read_b32 v63, v4 offset:42048                           // 000000004440: D86CA440 3F000004
	ds_read_b32 v64, v4 offset:42112                           // 000000004448: D86CA480 40000004
	buffer_load_dwordx4 v[228:231], v49, s[20:23], 0 offen     // 000000004450: E05C1000 8005E431
	ds_read_b32 v65, v4 offset:42176                           // 000000004458: D86CA4C0 41000004
	ds_read_b32 v66, v4 offset:42240                           // 000000004460: D86CA500 42000004
	ds_read_b32 v67, v4 offset:42304                           // 000000004468: D86CA540 43000004
	ds_read_b32 v68, v4 offset:42368                           // 000000004470: D86CA580 44000004
	ds_read_b32 v69, v4 offset:42432                           // 000000004478: D86CA5C0 45000004
	ds_read_b32 v70, v4 offset:42496                           // 000000004480: D86CA600 46000004
	ds_read_b32 v71, v4 offset:42560                           // 000000004488: D86CA640 47000004
	buffer_load_dwordx4 v[232:235], v50, s[20:23], 0 offen     // 000000004490: E05C1000 8005E832
	s_waitcnt lgkmcnt(0)                                       // 000000004498: BF8CC07F
	v_max3_f32 v8, v56, v57, v8                                // 00000000449C: D1D30008 04227338
	v_max3_f32 v8, v58, v59, v8                                // 0000000044A4: D1D30008 0422773A
	v_max3_f32 v8, v60, v61, v8                                // 0000000044AC: D1D30008 04227B3C
	v_max3_f32 v8, v62, v63, v8                                // 0000000044B4: D1D30008 04227F3E
	v_max3_f32 v8, v64, v65, v8                                // 0000000044BC: D1D30008 04228340
	v_max3_f32 v8, v66, v67, v8                                // 0000000044C4: D1D30008 04228742
	v_max3_f32 v8, v68, v69, v8                                // 0000000044CC: D1D30008 04228B44
	v_max3_f32 v8, v70, v71, v8                                // 0000000044D4: D1D30008 04228F46
	buffer_load_dwordx4 v[236:239], v51, s[20:23], 0 offen     // 0000000044DC: E05C1000 8005EC33
	v_cmp_eq_u32_e64 s[34:35], v11, v12                        // 0000000044E4: D0CA0022 0002190B
	v_max_f32_e32 v13, v8, v12                                 // 0000000044EC: 161A1908
	v_sub_f32_e32 v18, v12, v13                                // 0000000044F0: 04241B0C
	v_cndmask_b32_e64 v18, v18, 0, s[34:35]                    // 0000000044F4: D1000012 00890112
	v_mov_b32_e32 v12, v13                                     // 0000000044FC: 7E18030D
	v_mul_f32_e32 v9, s5, v13                                  // 000000004500: 0A121A05
	v_mul_f32_e32 v18, s5, v18                                 // 000000004504: 0A242405
	v_exp_f32_e32 v18, v18                                     // 000000004508: 7E244112
	buffer_load_dwordx4 v[240:243], v52, s[20:23], 0 offen     // 00000000450C: E05C1000 8005F034
	v_fma_f32 v88, v88, s5, -v9                                // 000000004514: D1CB0058 84240B58
	v_fma_f32 v89, v89, s5, -v9                                // 00000000451C: D1CB0059 84240B59
	v_fma_f32 v90, v90, s5, -v9                                // 000000004524: D1CB005A 84240B5A
	v_fma_f32 v91, v91, s5, -v9                                // 00000000452C: D1CB005B 84240B5B
	v_exp_f32_e32 v88, v88                                     // 000000004534: 7EB04158
	v_exp_f32_e32 v89, v89                                     // 000000004538: 7EB24159
	v_exp_f32_e32 v90, v90                                     // 00000000453C: 7EB4415A
	v_exp_f32_e32 v91, v91                                     // 000000004540: 7EB6415B
	buffer_load_dwordx4 v[244:247], v53, s[20:23], 0 offen     // 000000004544: E05C1000 8005F435
	v_mul_f32_e32 v14, v18, v14                                // 00000000454C: 0A1C1D12
	v_mov_b32_e32 v15, v88                                     // 000000004550: 7E1E0358
	v_add_f32_e32 v15, v89, v15                                // 000000004554: 021E1F59
	v_add_f32_e32 v15, v90, v15                                // 000000004558: 021E1F5A
	v_add_f32_e32 v15, v91, v15                                // 00000000455C: 021E1F5B
	v_add_f32_e32 v14, v15, v14                                // 000000004560: 021C1D0F
	buffer_load_dwordx4 v[248:251], v54, s[20:23], 0 offen     // 000000004564: E05C1000 8005F836
	v_cmp_u_f32_e64 s[34:35], v88, v88                         // 00000000456C: D0480022 0002B158
	v_add3_u32 v28, v88, v31, 1                                // 000000004574: D1FF001C 02063F58
	v_cndmask_b32_e64 v32, v28, v30, s[34:35]                  // 00000000457C: D1000020 008A3D1C
	v_cmp_u_f32_e64 s[34:35], v89, v89                         // 000000004584: D0480022 0002B359
	v_add3_u32 v28, v89, v31, 1                                // 00000000458C: D1FF001C 02063F59
	v_cndmask_b32_e64 v33, v28, v30, s[34:35]                  // 000000004594: D1000021 008A3D1C
	v_perm_b32 v88, v33, v32, s52                              // 00000000459C: D1ED0058 00D24121
	v_cmp_u_f32_e64 s[34:35], v90, v90                         // 0000000045A4: D0480022 0002B55A
	v_add3_u32 v28, v90, v31, 1                                // 0000000045AC: D1FF001C 02063F5A
	v_cndmask_b32_e64 v32, v28, v30, s[34:35]                  // 0000000045B4: D1000020 008A3D1C
	v_cmp_u_f32_e64 s[34:35], v91, v91                         // 0000000045BC: D0480022 0002B75B
	v_add3_u32 v28, v91, v31, 1                                // 0000000045C4: D1FF001C 02063F5B
	v_cndmask_b32_e64 v33, v28, v30, s[34:35]                  // 0000000045CC: D1000021 008A3D1C
	v_perm_b32 v89, v33, v32, s52                              // 0000000045D4: D1ED0059 00D24121
	ds_write_b64 v7, v[88:89] offset:42624                     // 0000000045DC: D89AA680 00005807
	buffer_load_dwordx4 v[252:255], v55, s[20:23], 0 offen     // 0000000045E4: E05C1000 8005FC37
	s_waitcnt lgkmcnt(0)                                       // 0000000045EC: BF8CC07F
	s_barrier                                                  // 0000000045F0: BF8A0000
	ds_read_b64 v[88:89], v6 offset:42624                      // 0000000045F4: D8ECA680 58000006
	ds_read_b64 v[90:91], v6 offset:42752                      // 0000000045FC: D8ECA700 5A000006
	ds_read_b64 v[92:93], v6 offset:43648                      // 000000004604: D8ECAA80 5C000006
	ds_read_b64 v[94:95], v6 offset:43776                      // 00000000460C: D8ECAB00 5E000006
	v_mul_u32_u24_dpp v40, v24, v10 row_newbcast:0 row_mask:0xf bank_mask:0xf// 000000004614: 105014FA FF015018
	v_mul_u32_u24_dpp v41, v24, v10 row_newbcast:1 row_mask:0xf bank_mask:0xf// 00000000461C: 105214FA FF015118
	v_mul_u32_u24_dpp v42, v24, v10 row_newbcast:2 row_mask:0xf bank_mask:0xf// 000000004624: 105414FA FF015218
	v_mul_u32_u24_dpp v43, v24, v10 row_newbcast:3 row_mask:0xf bank_mask:0xf// 00000000462C: 105614FA FF015318
	v_mul_u32_u24_dpp v44, v24, v10 row_newbcast:4 row_mask:0xf bank_mask:0xf// 000000004634: 105814FA FF015418
	v_mul_u32_u24_dpp v45, v24, v10 row_newbcast:5 row_mask:0xf bank_mask:0xf// 00000000463C: 105A14FA FF015518
	v_mul_u32_u24_dpp v46, v24, v10 row_newbcast:6 row_mask:0xf bank_mask:0xf// 000000004644: 105C14FA FF015618
	v_mul_u32_u24_dpp v47, v24, v10 row_newbcast:7 row_mask:0xf bank_mask:0xf// 00000000464C: 105E14FA FF015718
	v_mul_u32_u24_dpp v48, v24, v10 row_newbcast:8 row_mask:0xf bank_mask:0xf// 000000004654: 106014FA FF015818
	v_mul_u32_u24_dpp v49, v24, v10 row_newbcast:9 row_mask:0xf bank_mask:0xf// 00000000465C: 106214FA FF015918
	v_mul_u32_u24_dpp v50, v24, v10 row_newbcast:10 row_mask:0xf bank_mask:0xf// 000000004664: 106414FA FF015A18
	v_mul_u32_u24_dpp v51, v24, v10 row_newbcast:11 row_mask:0xf bank_mask:0xf// 00000000466C: 106614FA FF015B18
	v_mul_u32_u24_dpp v52, v24, v10 row_newbcast:12 row_mask:0xf bank_mask:0xf// 000000004674: 106814FA FF015C18
	v_mul_u32_u24_dpp v53, v24, v10 row_newbcast:13 row_mask:0xf bank_mask:0xf// 00000000467C: 106A14FA FF015D18
	v_mul_u32_u24_dpp v54, v24, v10 row_newbcast:14 row_mask:0xf bank_mask:0xf// 000000004684: 106C14FA FF015E18
	v_mul_u32_u24_dpp v55, v24, v10 row_newbcast:15 row_mask:0xf bank_mask:0xf// 00000000468C: 106E14FA FF015F18
	s_mov_b32 s56, m0                                          // 000000004694: BEB8007C
	s_set_gpr_idx_on s51, gpr_idx(SRC0)                        // 000000004698: BF110133
	v_add_u32_e32 v36, v40, v3                                 // 00000000469C: 68480728
	v_add_u32_e32 v37, v41, v3                                 // 0000000046A0: 684A0729
	v_add_u32_e32 v38, v42, v3                                 // 0000000046A4: 684C072A
	v_add_u32_e32 v39, v43, v3                                 // 0000000046A8: 684E072B
	s_set_gpr_idx_off                                          // 0000000046AC: BF9C0000
	s_mov_b32 m0, s56                                          // 0000000046B0: BEFC0038
	v_add_u32_e32 v40, v40, v2                                 // 0000000046B4: 68500528
	v_add_u32_e32 v41, v41, v2                                 // 0000000046B8: 68520529
	v_add_u32_e32 v42, v42, v2                                 // 0000000046BC: 6854052A
	v_add_u32_e32 v43, v43, v2                                 // 0000000046C0: 6856052B
	v_add_u32_e32 v44, v44, v2                                 // 0000000046C4: 6858052C
	v_add_u32_e32 v45, v45, v2                                 // 0000000046C8: 685A052D
	v_add_u32_e32 v46, v46, v2                                 // 0000000046CC: 685C052E
	v_add_u32_e32 v47, v47, v2                                 // 0000000046D0: 685E052F
	v_add_u32_e32 v48, v48, v2                                 // 0000000046D4: 68600530
	v_add_u32_e32 v49, v49, v2                                 // 0000000046D8: 68620531
	v_add_u32_e32 v50, v50, v2                                 // 0000000046DC: 68640532
	v_add_u32_e32 v51, v51, v2                                 // 0000000046E0: 68660533
	v_add_u32_e32 v52, v52, v2                                 // 0000000046E4: 68680534
	v_add_u32_e32 v53, v53, v2                                 // 0000000046E8: 686A0535
	v_add_u32_e32 v54, v54, v2                                 // 0000000046EC: 686C0536
	v_add_u32_e32 v55, v55, v2                                 // 0000000046F0: 686E0537
	s_waitcnt lgkmcnt(0)                                       // 0000000046F4: BF8CC07F
	s_add_u32 s83, s84, s83                                    // 0000000046F8: 80535354
	v_mul_f32_e32 v96, v18, v96                                // 0000000046FC: 0AC0C112
	v_mul_f32_e32 v97, v18, v97                                // 000000004700: 0AC2C312
	v_mul_f32_e32 v98, v18, v98                                // 000000004704: 0AC4C512
	v_mul_f32_e32 v99, v18, v99                                // 000000004708: 0AC6C712
	v_mul_f32_e32 v100, v18, v100                              // 00000000470C: 0AC8C912
	v_mul_f32_e32 v101, v18, v101                              // 000000004710: 0ACACB12
	v_mul_f32_e32 v102, v18, v102                              // 000000004714: 0ACCCD12
	v_mul_f32_e32 v103, v18, v103                              // 000000004718: 0ACECF12
	v_mul_f32_e32 v104, v18, v104                              // 00000000471C: 0AD0D112
	v_mul_f32_e32 v105, v18, v105                              // 000000004720: 0AD2D312
	v_mul_f32_e32 v106, v18, v106                              // 000000004724: 0AD4D512
	v_mul_f32_e32 v107, v18, v107                              // 000000004728: 0AD6D712
	v_mul_f32_e32 v108, v18, v108                              // 00000000472C: 0AD8D912
	v_mul_f32_e32 v109, v18, v109                              // 000000004730: 0ADADB12
	v_mul_f32_e32 v110, v18, v110                              // 000000004734: 0ADCDD12
	v_mul_f32_e32 v111, v18, v111                              // 000000004738: 0ADEDF12
	v_mul_f32_e32 v112, v18, v112                              // 00000000473C: 0AE0E112
	v_mul_f32_e32 v113, v18, v113                              // 000000004740: 0AE2E312
	v_mul_f32_e32 v114, v18, v114                              // 000000004744: 0AE4E512
	v_mul_f32_e32 v115, v18, v115                              // 000000004748: 0AE6E712
	v_mul_f32_e32 v116, v18, v116                              // 00000000474C: 0AE8E912
	v_mul_f32_e32 v117, v18, v117                              // 000000004750: 0AEAEB12
	v_mul_f32_e32 v118, v18, v118                              // 000000004754: 0AECED12
	v_mul_f32_e32 v119, v18, v119                              // 000000004758: 0AEEEF12
	v_mul_f32_e32 v120, v18, v120                              // 00000000475C: 0AF0F112
	v_mul_f32_e32 v121, v18, v121                              // 000000004760: 0AF2F312
	v_mul_f32_e32 v122, v18, v122                              // 000000004764: 0AF4F512
	v_mul_f32_e32 v123, v18, v123                              // 000000004768: 0AF6F712
	v_mul_f32_e32 v124, v18, v124                              // 00000000476C: 0AF8F912
	v_mul_f32_e32 v125, v18, v125                              // 000000004770: 0AFAFB12
	v_mul_f32_e32 v126, v18, v126                              // 000000004774: 0AFCFD12
	v_mul_f32_e32 v127, v18, v127                              // 000000004778: 0AFEFF12
	s_waitcnt vmcnt(25)                                        // 00000000477C: BF8C4F79
	v_mfma_f32_16x16x16_bf16 v[96:99], a[144:145], v[88:89], v[96:99]// 000000004780: D3E10060 0D82B190
	v_mfma_f32_16x16x16_bf16 v[96:99], a[146:147], v[90:91], v[96:99]// 000000004788: D3E10060 0D82B592
	ds_write_b128 v20, v[160:163]                              // 000000004790: D9BE0000 0000A014
	v_mfma_f32_16x16x16_bf16 v[96:99], a[148:149], v[92:93], v[96:99]// 000000004798: D3E10060 0D82B994
	v_mfma_f32_16x16x16_bf16 v[96:99], a[150:151], v[94:95], v[96:99]// 0000000047A0: D3E10060 0D82BD96
	ds_write_b128 v20, v[164:167] offset:8224                  // 0000000047A8: D9BE2020 0000A414
	v_mfma_f32_16x16x16_bf16 v[100:103], a[152:153], v[88:89], v[100:103]// 0000000047B0: D3E10064 0D92B198
	v_mfma_f32_16x16x16_bf16 v[100:103], a[154:155], v[90:91], v[100:103]// 0000000047B8: D3E10064 0D92B59A
	ds_write_b128 v20, v[168:171] offset:16448                 // 0000000047C0: D9BE4040 0000A814
	v_mfma_f32_16x16x16_bf16 v[100:103], a[156:157], v[92:93], v[100:103]// 0000000047C8: D3E10064 0D92B99C
	v_mfma_f32_16x16x16_bf16 v[100:103], a[158:159], v[94:95], v[100:103]// 0000000047D0: D3E10064 0D92BD9E
	ds_write_b128 v20, v[172:175] offset:24672                 // 0000000047D8: D9BE6060 0000AC14
	v_mfma_f32_16x16x16_bf16 v[104:107], a[160:161], v[88:89], v[104:107]// 0000000047E0: D3E10068 0DA2B1A0
	v_mfma_f32_16x16x16_bf16 v[104:107], a[162:163], v[90:91], v[104:107]// 0000000047E8: D3E10068 0DA2B5A2
	ds_write_b128 v20, v[176:179] offset:1024                  // 0000000047F0: D9BE0400 0000B014
	v_mfma_f32_16x16x16_bf16 v[104:107], a[164:165], v[92:93], v[104:107]// 0000000047F8: D3E10068 0DA2B9A4
	v_mfma_f32_16x16x16_bf16 v[104:107], a[166:167], v[94:95], v[104:107]// 000000004800: D3E10068 0DA2BDA6
	ds_write_b128 v20, v[180:183] offset:9248                  // 000000004808: D9BE2420 0000B414
	v_mfma_f32_16x16x16_bf16 v[108:111], a[168:169], v[88:89], v[108:111]// 000000004810: D3E1006C 0DB2B1A8
	v_mfma_f32_16x16x16_bf16 v[108:111], a[170:171], v[90:91], v[108:111]// 000000004818: D3E1006C 0DB2B5AA
	ds_write_b128 v20, v[184:187] offset:17472                 // 000000004820: D9BE4440 0000B814
	v_mfma_f32_16x16x16_bf16 v[108:111], a[172:173], v[92:93], v[108:111]// 000000004828: D3E1006C 0DB2B9AC
	v_mfma_f32_16x16x16_bf16 v[108:111], a[174:175], v[94:95], v[108:111]// 000000004830: D3E1006C 0DB2BDAE
	ds_write_b128 v20, v[188:191] offset:25696                 // 000000004838: D9BE6460 0000BC14
	v_mfma_f32_16x16x16_bf16 v[112:115], a[176:177], v[88:89], v[112:115]// 000000004840: D3E10070 0DC2B1B0
	v_mfma_f32_16x16x16_bf16 v[112:115], a[178:179], v[90:91], v[112:115]// 000000004848: D3E10070 0DC2B5B2
	ds_read_b64 a[136:137], v23 offset:32896                   // 000000004850: DAEC8080 88000017
	ds_read_b64 a[138:139], v23 offset:32904                   // 000000004858: DAEC8088 8A000017
	v_mfma_f32_16x16x16_bf16 v[112:115], a[180:181], v[92:93], v[112:115]// 000000004860: D3E10070 0DC2B9B4
	v_mfma_f32_16x16x16_bf16 v[112:115], a[182:183], v[94:95], v[112:115]// 000000004868: D3E10070 0DC2BDB6
	ds_read_b64 a[140:141], v23 offset:32960                   // 000000004870: DAEC80C0 8C000017
	ds_read_b64 a[142:143], v23 offset:32968                   // 000000004878: DAEC80C8 8E000017
	s_waitcnt lgkmcnt(8)                                       // 000000004880: BF8CC87F
	s_barrier                                                  // 000000004884: BF8A0000
	v_mfma_f32_16x16x16_bf16 v[116:119], a[184:185], v[88:89], v[116:119]// 000000004888: D3E10074 0DD2B1B8
	v_mfma_f32_16x16x16_bf16 v[116:119], a[186:187], v[90:91], v[116:119]// 000000004890: D3E10074 0DD2B5BA
	v_mfma_f32_16x16x16_bf16 v[116:119], a[188:189], v[92:93], v[116:119]// 000000004898: D3E10074 0DD2B9BC
	v_mfma_f32_16x16x16_bf16 v[116:119], a[190:191], v[94:95], v[116:119]// 0000000048A0: D3E10074 0DD2BDBE
	v_mfma_f32_16x16x16_bf16 v[120:123], a[192:193], v[88:89], v[120:123]// 0000000048A8: D3E10078 0DE2B1C0
	v_mfma_f32_16x16x16_bf16 v[120:123], a[194:195], v[90:91], v[120:123]// 0000000048B0: D3E10078 0DE2B5C2
	v_mfma_f32_16x16x16_bf16 v[120:123], a[196:197], v[92:93], v[120:123]// 0000000048B8: D3E10078 0DE2B9C4
	v_mfma_f32_16x16x16_bf16 v[120:123], a[198:199], v[94:95], v[120:123]// 0000000048C0: D3E10078 0DE2BDC6
	v_mfma_f32_16x16x16_bf16 v[124:127], a[200:201], v[88:89], v[124:127]// 0000000048C8: D3E1007C 0DF2B1C8
	v_mfma_f32_16x16x16_bf16 v[124:127], a[202:203], v[90:91], v[124:127]// 0000000048D0: D3E1007C 0DF2B5CA
	v_mfma_f32_16x16x16_bf16 v[124:127], a[204:205], v[92:93], v[124:127]// 0000000048D8: D3E1007C 0DF2B9CC
	v_mfma_f32_16x16x16_bf16 v[124:127], a[206:207], v[94:95], v[124:127]// 0000000048E0: D3E1007C 0DF2BDCE
	v_perm_b32 v56, v132, v128, s53                            // 0000000048E8: D1ED0038 00D70184
	v_perm_b32 v57, v132, v128, s52                            // 0000000048F0: D1ED0039 00D30184
	v_perm_b32 v58, v140, v136, s53                            // 0000000048F8: D1ED003A 00D7118C
	v_perm_b32 v59, v140, v136, s52                            // 000000004900: D1ED003B 00D3118C
	v_perm_b32 v60, v148, v144, s53                            // 000000004908: D1ED003C 00D72194
	v_perm_b32 v61, v148, v144, s52                            // 000000004910: D1ED003D 00D32194
	v_perm_b32 v62, v156, v152, s53                            // 000000004918: D1ED003E 00D7319C
	v_perm_b32 v63, v156, v152, s52                            // 000000004920: D1ED003F 00D3319C
	v_accvgpr_write_b32 a144, v56                              // 000000004928: D3D94090 18000138
	v_accvgpr_write_b32 a152, v57                              // 000000004930: D3D94098 18000139
	v_accvgpr_write_b32 a145, v58                              // 000000004938: D3D94091 1800013A
	v_accvgpr_write_b32 a153, v59                              // 000000004940: D3D94099 1800013B
	v_accvgpr_write_b32 a146, v60                              // 000000004948: D3D94092 1800013C
	v_accvgpr_write_b32 a154, v61                              // 000000004950: D3D9409A 1800013D
	v_accvgpr_write_b32 a147, v62                              // 000000004958: D3D94093 1800013E
	v_accvgpr_write_b32 a155, v63                              // 000000004960: D3D9409B 1800013F
	v_perm_b32 v56, v164, v160, s53                            // 000000004968: D1ED0038 00D741A4
	v_perm_b32 v57, v164, v160, s52                            // 000000004970: D1ED0039 00D341A4
	v_perm_b32 v58, v172, v168, s53                            // 000000004978: D1ED003A 00D751AC
	v_perm_b32 v59, v172, v168, s52                            // 000000004980: D1ED003B 00D351AC
	v_perm_b32 v60, v180, v176, s53                            // 000000004988: D1ED003C 00D761B4
	v_perm_b32 v61, v180, v176, s52                            // 000000004990: D1ED003D 00D361B4
	v_perm_b32 v62, v188, v184, s53                            // 000000004998: D1ED003E 00D771BC
	v_perm_b32 v63, v188, v184, s52                            // 0000000049A0: D1ED003F 00D371BC
	v_accvgpr_write_b32 a148, v56                              // 0000000049A8: D3D94094 18000138
	v_accvgpr_write_b32 a156, v57                              // 0000000049B0: D3D9409C 18000139
	v_accvgpr_write_b32 a149, v58                              // 0000000049B8: D3D94095 1800013A
	v_accvgpr_write_b32 a157, v59                              // 0000000049C0: D3D9409D 1800013B
	v_accvgpr_write_b32 a150, v60                              // 0000000049C8: D3D94096 1800013C
	v_accvgpr_write_b32 a158, v61                              // 0000000049D0: D3D9409E 1800013D
	v_accvgpr_write_b32 a151, v62                              // 0000000049D8: D3D94097 1800013E
	v_accvgpr_write_b32 a159, v63                              // 0000000049E0: D3D9409F 1800013F
	v_perm_b32 v56, v133, v129, s53                            // 0000000049E8: D1ED0038 00D70385
	v_perm_b32 v57, v133, v129, s52                            // 0000000049F0: D1ED0039 00D30385
	v_perm_b32 v58, v141, v137, s53                            // 0000000049F8: D1ED003A 00D7138D
	v_perm_b32 v59, v141, v137, s52                            // 000000004A00: D1ED003B 00D3138D
	v_perm_b32 v60, v149, v145, s53                            // 000000004A08: D1ED003C 00D72395
	v_perm_b32 v61, v149, v145, s52                            // 000000004A10: D1ED003D 00D32395
	v_perm_b32 v62, v157, v153, s53                            // 000000004A18: D1ED003E 00D7339D
	v_perm_b32 v63, v157, v153, s52                            // 000000004A20: D1ED003F 00D3339D
	v_accvgpr_write_b32 a160, v56                              // 000000004A28: D3D940A0 18000138
	v_accvgpr_write_b32 a168, v57                              // 000000004A30: D3D940A8 18000139
	v_accvgpr_write_b32 a161, v58                              // 000000004A38: D3D940A1 1800013A
	v_accvgpr_write_b32 a169, v59                              // 000000004A40: D3D940A9 1800013B
	v_accvgpr_write_b32 a162, v60                              // 000000004A48: D3D940A2 1800013C
	v_accvgpr_write_b32 a170, v61                              // 000000004A50: D3D940AA 1800013D
	v_accvgpr_write_b32 a163, v62                              // 000000004A58: D3D940A3 1800013E
	v_accvgpr_write_b32 a171, v63                              // 000000004A60: D3D940AB 1800013F
	v_perm_b32 v56, v165, v161, s53                            // 000000004A68: D1ED0038 00D743A5
	v_perm_b32 v57, v165, v161, s52                            // 000000004A70: D1ED0039 00D343A5
	v_perm_b32 v58, v173, v169, s53                            // 000000004A78: D1ED003A 00D753AD
	v_perm_b32 v59, v173, v169, s52                            // 000000004A80: D1ED003B 00D353AD
	v_perm_b32 v60, v181, v177, s53                            // 000000004A88: D1ED003C 00D763B5
	v_perm_b32 v61, v181, v177, s52                            // 000000004A90: D1ED003D 00D363B5
	v_perm_b32 v62, v189, v185, s53                            // 000000004A98: D1ED003E 00D773BD
	v_perm_b32 v63, v189, v185, s52                            // 000000004AA0: D1ED003F 00D373BD
	v_accvgpr_write_b32 a164, v56                              // 000000004AA8: D3D940A4 18000138
	v_accvgpr_write_b32 a172, v57                              // 000000004AB0: D3D940AC 18000139
	v_accvgpr_write_b32 a165, v58                              // 000000004AB8: D3D940A5 1800013A
	v_accvgpr_write_b32 a173, v59                              // 000000004AC0: D3D940AD 1800013B
	v_accvgpr_write_b32 a166, v60                              // 000000004AC8: D3D940A6 1800013C
	v_accvgpr_write_b32 a174, v61                              // 000000004AD0: D3D940AE 1800013D
	v_accvgpr_write_b32 a167, v62                              // 000000004AD8: D3D940A7 1800013E
	v_accvgpr_write_b32 a175, v63                              // 000000004AE0: D3D940AF 1800013F
	v_perm_b32 v56, v134, v130, s53                            // 000000004AE8: D1ED0038 00D70586
	v_perm_b32 v57, v134, v130, s52                            // 000000004AF0: D1ED0039 00D30586
	v_perm_b32 v58, v142, v138, s53                            // 000000004AF8: D1ED003A 00D7158E
	v_perm_b32 v59, v142, v138, s52                            // 000000004B00: D1ED003B 00D3158E
	v_perm_b32 v60, v150, v146, s53                            // 000000004B08: D1ED003C 00D72596
	v_perm_b32 v61, v150, v146, s52                            // 000000004B10: D1ED003D 00D32596
	v_perm_b32 v62, v158, v154, s53                            // 000000004B18: D1ED003E 00D7359E
	v_perm_b32 v63, v158, v154, s52                            // 000000004B20: D1ED003F 00D3359E
	v_accvgpr_write_b32 a176, v56                              // 000000004B28: D3D940B0 18000138
	v_accvgpr_write_b32 a184, v57                              // 000000004B30: D3D940B8 18000139
	v_accvgpr_write_b32 a177, v58                              // 000000004B38: D3D940B1 1800013A
	v_accvgpr_write_b32 a185, v59                              // 000000004B40: D3D940B9 1800013B
	v_accvgpr_write_b32 a178, v60                              // 000000004B48: D3D940B2 1800013C
	v_accvgpr_write_b32 a186, v61                              // 000000004B50: D3D940BA 1800013D
	v_accvgpr_write_b32 a179, v62                              // 000000004B58: D3D940B3 1800013E
	v_accvgpr_write_b32 a187, v63                              // 000000004B60: D3D940BB 1800013F
	v_perm_b32 v56, v166, v162, s53                            // 000000004B68: D1ED0038 00D745A6
	v_perm_b32 v57, v166, v162, s52                            // 000000004B70: D1ED0039 00D345A6
	v_perm_b32 v58, v174, v170, s53                            // 000000004B78: D1ED003A 00D755AE
	v_perm_b32 v59, v174, v170, s52                            // 000000004B80: D1ED003B 00D355AE
	v_perm_b32 v60, v182, v178, s53                            // 000000004B88: D1ED003C 00D765B6
	v_perm_b32 v61, v182, v178, s52                            // 000000004B90: D1ED003D 00D365B6
	v_perm_b32 v62, v190, v186, s53                            // 000000004B98: D1ED003E 00D775BE
	v_perm_b32 v63, v190, v186, s52                            // 000000004BA0: D1ED003F 00D375BE
	v_accvgpr_write_b32 a180, v56                              // 000000004BA8: D3D940B4 18000138
	v_accvgpr_write_b32 a188, v57                              // 000000004BB0: D3D940BC 18000139
	v_accvgpr_write_b32 a181, v58                              // 000000004BB8: D3D940B5 1800013A
	v_accvgpr_write_b32 a189, v59                              // 000000004BC0: D3D940BD 1800013B
	v_accvgpr_write_b32 a182, v60                              // 000000004BC8: D3D940B6 1800013C
	v_accvgpr_write_b32 a190, v61                              // 000000004BD0: D3D940BE 1800013D
	v_accvgpr_write_b32 a183, v62                              // 000000004BD8: D3D940B7 1800013E
	v_accvgpr_write_b32 a191, v63                              // 000000004BE0: D3D940BF 1800013F
	v_perm_b32 v56, v135, v131, s53                            // 000000004BE8: D1ED0038 00D70787
	v_perm_b32 v57, v135, v131, s52                            // 000000004BF0: D1ED0039 00D30787
	v_perm_b32 v58, v143, v139, s53                            // 000000004BF8: D1ED003A 00D7178F
	v_perm_b32 v59, v143, v139, s52                            // 000000004C00: D1ED003B 00D3178F
	v_perm_b32 v60, v151, v147, s53                            // 000000004C08: D1ED003C 00D72797
	v_perm_b32 v61, v151, v147, s52                            // 000000004C10: D1ED003D 00D32797
	v_perm_b32 v62, v159, v155, s53                            // 000000004C18: D1ED003E 00D7379F
	v_perm_b32 v63, v159, v155, s52                            // 000000004C20: D1ED003F 00D3379F
	v_accvgpr_write_b32 a192, v56                              // 000000004C28: D3D940C0 18000138
	v_accvgpr_write_b32 a200, v57                              // 000000004C30: D3D940C8 18000139
	v_accvgpr_write_b32 a193, v58                              // 000000004C38: D3D940C1 1800013A
	v_accvgpr_write_b32 a201, v59                              // 000000004C40: D3D940C9 1800013B
	v_accvgpr_write_b32 a194, v60                              // 000000004C48: D3D940C2 1800013C
	v_accvgpr_write_b32 a202, v61                              // 000000004C50: D3D940CA 1800013D
	v_accvgpr_write_b32 a195, v62                              // 000000004C58: D3D940C3 1800013E
	v_accvgpr_write_b32 a203, v63                              // 000000004C60: D3D940CB 1800013F
	v_perm_b32 v56, v167, v163, s53                            // 000000004C68: D1ED0038 00D747A7
	v_perm_b32 v57, v167, v163, s52                            // 000000004C70: D1ED0039 00D347A7
	v_perm_b32 v58, v175, v171, s53                            // 000000004C78: D1ED003A 00D757AF
	v_perm_b32 v59, v175, v171, s52                            // 000000004C80: D1ED003B 00D357AF
	v_perm_b32 v60, v183, v179, s53                            // 000000004C88: D1ED003C 00D767B7
	v_perm_b32 v61, v183, v179, s52                            // 000000004C90: D1ED003D 00D367B7
	v_perm_b32 v62, v191, v187, s53                            // 000000004C98: D1ED003E 00D777BF
	v_perm_b32 v63, v191, v187, s52                            // 000000004CA0: D1ED003F 00D377BF
	v_accvgpr_write_b32 a196, v56                              // 000000004CA8: D3D940C4 18000138
	v_accvgpr_write_b32 a204, v57                              // 000000004CB0: D3D940CC 18000139
	v_accvgpr_write_b32 a197, v58                              // 000000004CB8: D3D940C5 1800013A
	v_accvgpr_write_b32 a205, v59                              // 000000004CC0: D3D940CD 1800013B
	v_accvgpr_write_b32 a198, v60                              // 000000004CC8: D3D940C6 1800013C
	v_accvgpr_write_b32 a206, v61                              // 000000004CD0: D3D940CE 1800013D
	v_accvgpr_write_b32 a199, v62                              // 000000004CD8: D3D940C7 1800013E
	v_accvgpr_write_b32 a207, v63                              // 000000004CE0: D3D940CF 1800013F
	s_addk_i32 s70, 0x1                                        // 000000004CE8: B7460001
	s_cmp_lt_i32 s70, s71                                      // 000000004CEC: BF044746
	s_cbranch_scc0 label_0ABE                                  // 000000004CF0: BF840001
	s_branch label_0489                                        // 000000004CF4: BF82F9CB

0000000000004cf8 <label_0ABE>:
	s_nop 0                                                    // 000000004CF8: BF800000
	s_nop 0                                                    // 000000004CFC: BF800000
	s_branch label_10F6                                        // 000000004D00: BF820635

0000000000004d04 <label_0AC1>:
	s_waitcnt vmcnt(8) lgkmcnt(0)                              // 000000004D04: BF8C0078
	s_barrier                                                  // 000000004D08: BF8A0000
	v_mfma_f32_16x16x16_bf16 v[88:91], a[72:73], a[0:1], 0     // 000000004D0C: D3E10058 1A020148
	buffer_load_dwordx4 v[128:131], v40, s[20:23], 0 offen     // 000000004D14: E05C1000 80058028
	v_mfma_f32_16x16x16_bf16 v[88:91], a[74:75], a[2:3], v[88:91]// 000000004D1C: D3E10058 1D62054A
	ds_write_b128 v20, v[192:195]                              // 000000004D24: D9BE0000 0000C014
	v_mfma_f32_16x16x16_bf16 v[88:91], a[76:77], a[4:5], v[88:91]// 000000004D2C: D3E10058 1D62094C
	buffer_load_dword v24, v26, s[24:27], 0 offen              // 000000004D34: E0501000 8006181A
	v_mfma_f32_16x16x16_bf16 v[88:91], a[78:79], a[6:7], v[88:91]// 000000004D3C: D3E10058 1D620D4E
	ds_write_b128 v20, v[196:199] offset:8224                  // 000000004D44: D9BE2020 0000C414
	v_mfma_f32_16x16x16_bf16 v[88:91], a[80:81], a[8:9], v[88:91]// 000000004D4C: D3E10058 1D621150
	buffer_load_dwordx4 v[132:135], v41, s[20:23], 0 offen     // 000000004D54: E05C1000 80058429
	v_mfma_f32_16x16x16_bf16 v[88:91], a[82:83], a[10:11], v[88:91]// 000000004D5C: D3E10058 1D621552
	ds_write_b128 v20, v[200:203] offset:16448                 // 000000004D64: D9BE4040 0000C814
	v_mfma_f32_16x16x16_bf16 v[88:91], a[84:85], a[12:13], v[88:91]// 000000004D6C: D3E10058 1D621954
	v_mfma_f32_16x16x16_bf16 v[88:91], a[86:87], a[14:15], v[88:91]// 000000004D74: D3E10058 1D621D56
	ds_write_b128 v20, v[204:207] offset:24672                 // 000000004D7C: D9BE6060 0000CC14
	v_mfma_f32_16x16x16_bf16 v[88:91], a[88:89], a[16:17], v[88:91]// 000000004D84: D3E10058 1D622158
	buffer_load_dwordx4 v[136:139], v42, s[20:23], 0 offen     // 000000004D8C: E05C1000 8005882A
	v_mfma_f32_16x16x16_bf16 v[88:91], a[90:91], a[18:19], v[88:91]// 000000004D94: D3E10058 1D62255A
	ds_write_b128 v20, v[208:211] offset:1024                  // 000000004D9C: D9BE0400 0000D014
	v_mfma_f32_16x16x16_bf16 v[88:91], a[92:93], a[20:21], v[88:91]// 000000004DA4: D3E10058 1D62295C
	v_mfma_f32_16x16x16_bf16 v[88:91], a[94:95], a[22:23], v[88:91]// 000000004DAC: D3E10058 1D622D5E
	ds_write_b128 v20, v[212:215] offset:9248                  // 000000004DB4: D9BE2420 0000D414
	v_mfma_f32_16x16x16_bf16 v[88:91], a[96:97], a[24:25], v[88:91]// 000000004DBC: D3E10058 1D623160
	buffer_load_dwordx4 v[140:143], v43, s[20:23], 0 offen     // 000000004DC4: E05C1000 80058C2B
	v_mfma_f32_16x16x16_bf16 v[88:91], a[98:99], a[26:27], v[88:91]// 000000004DCC: D3E10058 1D623562
	ds_write_b128 v20, v[216:219] offset:17472                 // 000000004DD4: D9BE4440 0000D814
	v_mfma_f32_16x16x16_bf16 v[88:91], a[100:101], a[28:29], v[88:91]// 000000004DDC: D3E10058 1D623964
	v_mfma_f32_16x16x16_bf16 v[88:91], a[102:103], a[30:31], v[88:91]// 000000004DE4: D3E10058 1D623D66
	ds_write_b128 v20, v[220:223] offset:25696                 // 000000004DEC: D9BE6460 0000DC14
	v_mfma_f32_16x16x16_bf16 v[88:91], a[104:105], a[32:33], v[88:91]// 000000004DF4: D3E10058 1D624168
	buffer_load_dwordx4 v[144:147], v44, s[20:23], 0 offen     // 000000004DFC: E05C1000 8005902C
	v_mfma_f32_16x16x16_bf16 v[88:91], a[106:107], a[34:35], v[88:91]// 000000004E04: D3E10058 1D62456A
	ds_write_b32 v21, v80 offset:32896                         // 000000004E0C: D81A8080 00005015
	ds_write_b32 v21, v81 offset:32960                         // 000000004E14: D81A80C0 00005115
	v_mfma_f32_16x16x16_bf16 v[88:91], a[108:109], a[36:37], v[88:91]// 000000004E1C: D3E10058 1D62496C
	v_mfma_f32_16x16x16_bf16 v[88:91], a[110:111], a[38:39], v[88:91]// 000000004E24: D3E10058 1D624D6E
	ds_write_b32 v21, v82 offset:33032                         // 000000004E2C: D81A8108 00005215
	ds_write_b32 v21, v83 offset:33096                         // 000000004E34: D81A8148 00005315
	v_mfma_f32_16x16x16_bf16 v[88:91], a[112:113], a[40:41], v[88:91]// 000000004E3C: D3E10058 1D625170
	buffer_load_dwordx4 v[148:151], v45, s[20:23], 0 offen     // 000000004E44: E05C1000 8005942D
	v_mfma_f32_16x16x16_bf16 v[88:91], a[114:115], a[42:43], v[88:91]// 000000004E4C: D3E10058 1D625572
	ds_write_b32 v21, v84 offset:33168                         // 000000004E54: D81A8190 00005415
	ds_write_b32 v21, v85 offset:33232                         // 000000004E5C: D81A81D0 00005515
	v_mfma_f32_16x16x16_bf16 v[88:91], a[116:117], a[44:45], v[88:91]// 000000004E64: D3E10058 1D625974
	v_mfma_f32_16x16x16_bf16 v[88:91], a[118:119], a[46:47], v[88:91]// 000000004E6C: D3E10058 1D625D76
	ds_write_b32 v21, v86 offset:33304                         // 000000004E74: D81A8218 00005615
	ds_write_b32 v21, v87 offset:33368                         // 000000004E7C: D81A8258 00005715
	s_waitcnt lgkmcnt(8)                                       // 000000004E84: BF8CC87F
	s_barrier                                                  // 000000004E88: BF8A0000
	v_mfma_f32_16x16x16_bf16 v[88:91], a[120:121], a[48:49], v[88:91]// 000000004E8C: D3E10058 1D626178
	buffer_load_dwordx4 v[152:155], v46, s[20:23], 0 offen     // 000000004E94: E05C1000 8005982E
	v_mfma_f32_16x16x16_bf16 v[88:91], a[122:123], a[50:51], v[88:91]// 000000004E9C: D3E10058 1D62657A
	v_mfma_f32_16x16x16_bf16 v[88:91], a[124:125], a[52:53], v[88:91]// 000000004EA4: D3E10058 1D62697C
	v_mfma_f32_16x16x16_bf16 v[88:91], a[126:127], a[54:55], v[88:91]// 000000004EAC: D3E10058 1D626D7E
	v_mfma_f32_16x16x16_bf16 v[88:91], a[128:129], a[56:57], v[88:91]// 000000004EB4: D3E10058 1D627180
	buffer_load_dwordx4 v[156:159], v47, s[20:23], 0 offen     // 000000004EBC: E05C1000 80059C2F
	v_mfma_f32_16x16x16_bf16 v[88:91], a[130:131], a[58:59], v[88:91]// 000000004EC4: D3E10058 1D627582
	v_mfma_f32_16x16x16_bf16 v[88:91], a[132:133], a[60:61], v[88:91]// 000000004ECC: D3E10058 1D627984
	v_mfma_f32_16x16x16_bf16 v[88:91], a[134:135], a[62:63], v[88:91]// 000000004ED4: D3E10058 1D627D86
	v_mfma_f32_16x16x16_bf16 v[88:91], a[136:137], a[64:65], v[88:91]// 000000004EDC: D3E10058 1D628188
	buffer_load_dword v72, v36, s[20:23], 0 offen              // 000000004EE4: E0501000 80054824
	buffer_load_dword v73, v36, s[20:23], 0 offen offset:64    // 000000004EEC: E0501040 80054924
	v_mfma_f32_16x16x16_bf16 v[88:91], a[138:139], a[66:67], v[88:91]// 000000004EF4: D3E10058 1D62858A
	v_mfma_f32_16x16x16_bf16 v[88:91], a[140:141], a[68:69], v[88:91]// 000000004EFC: D3E10058 1D62898C
	buffer_load_dword v74, v37, s[20:23], 0 offen              // 000000004F04: E0501000 80054A25
	buffer_load_dword v75, v37, s[20:23], 0 offen offset:64    // 000000004F0C: E0501040 80054B25
	v_mfma_f32_16x16x16_bf16 v[88:91], a[142:143], a[70:71], v[88:91]// 000000004F14: D3E10058 1D628D8E
	v_add_u32_e32 v26, s73, v26                                // 000000004F1C: 68343449
	s_cmp_le_i32 s83, s82                                      // 000000004F20: BF055253
	s_cbranch_scc1 label_0B6C                                  // 000000004F24: BF850022
	v_mov_b32_e32 v11, 0xff800000                              // 000000004F28: 7E1602FF FF800000
	v_lshrrev_b32_e32 v32, 3, v0                               // 000000004F30: 20400083
	v_and_b32_e32 v32, 1, v32                                  // 000000004F34: 26404081
	v_add_u32_e32 v32, s82, v32                                // 000000004F38: 68404052
	s_mul_i32 s57, s7, 16                                      // 000000004F3C: 92399007
	s_sub_u32 s56, s83, 63                                     // 000000004F40: 80B8BF53
	v_lshrrev_b32_e32 v44, 4, v0                               // 000000004F44: 20580084
	v_mul_i32_i24_e32 v44, 4, v44                              // 000000004F48: 0C585884
	v_add_u32_e32 v44, s56, v44                                // 000000004F4C: 68585838
	v_add_u32_e32 v44, s57, v44                                // 000000004F50: 68585839
	v_add_u32_e32 v45, 1, v44                                  // 000000004F54: 685A5881
	v_add_u32_e32 v46, 2, v44                                  // 000000004F58: 685C5882
	v_add_u32_e32 v47, 3, v44                                  // 000000004F5C: 685E5883
	v_cmp_le_u32_e64 s[34:35], v44, v32                        // 000000004F60: D0CB0022 0002412C
	s_nop 0                                                    // 000000004F68: BF800000
	v_cndmask_b32_e64 v88, v11, v88, s[34:35]                  // 000000004F6C: D1000058 008AB10B
	v_cmp_le_u32_e64 s[34:35], v45, v32                        // 000000004F74: D0CB0022 0002412D
	s_nop 0                                                    // 000000004F7C: BF800000
	v_cndmask_b32_e64 v89, v11, v89, s[34:35]                  // 000000004F80: D1000059 008AB30B
	v_cmp_le_u32_e64 s[34:35], v46, v32                        // 000000004F88: D0CB0022 0002412E
	s_nop 0                                                    // 000000004F90: BF800000
	v_cndmask_b32_e64 v90, v11, v90, s[34:35]                  // 000000004F94: D100005A 008AB50B
	v_cmp_le_u32_e64 s[34:35], v47, v32                        // 000000004F9C: D0CB0022 0002412F
	s_nop 0                                                    // 000000004FA4: BF800000
	v_cndmask_b32_e64 v91, v11, v91, s[34:35]                  // 000000004FA8: D100005B 008AB70B

0000000000004fb0 <label_0B6C>:
	buffer_load_dword v76, v38, s[20:23], 0 offen              // 000000004FB0: E0501000 80054C26
	buffer_load_dword v77, v38, s[20:23], 0 offen offset:64    // 000000004FB8: E0501040 80054D26
	s_nop 8                                                    // 000000004FC0: BF800008
	v_mov_b32_e32 v8, v88                                      // 000000004FC4: 7E100358
	v_max3_f32 v8, v88, v89, v8                                // 000000004FC8: D1D30008 0422B358
	v_max3_f32 v8, v90, v91, v8                                // 000000004FD0: D1D30008 0422B75A
	ds_write_b32 v5, v8 offset:41600                           // 000000004FD8: D81AA280 00000805
	buffer_load_dword v78, v39, s[20:23], 0 offen              // 000000004FE0: E0501000 80054E27
	buffer_load_dword v79, v39, s[20:23], 0 offen offset:64    // 000000004FE8: E0501040 80054F27
	s_waitcnt lgkmcnt(0)                                       // 000000004FF0: BF8CC07F
	s_barrier                                                  // 000000004FF4: BF8A0000
	ds_read_b32 v56, v4 offset:41600                           // 000000004FF8: D86CA280 38000004
	buffer_load_dwordx4 v[160:163], v48, s[20:23], 0 offen     // 000000005000: E05C1000 8005A030
	ds_read_b32 v57, v4 offset:41664                           // 000000005008: D86CA2C0 39000004
	ds_read_b32 v58, v4 offset:41728                           // 000000005010: D86CA300 3A000004
	ds_read_b32 v59, v4 offset:41792                           // 000000005018: D86CA340 3B000004
	ds_read_b32 v60, v4 offset:41856                           // 000000005020: D86CA380 3C000004
	ds_read_b32 v61, v4 offset:41920                           // 000000005028: D86CA3C0 3D000004
	ds_read_b32 v62, v4 offset:41984                           // 000000005030: D86CA400 3E000004
	ds_read_b32 v63, v4 offset:42048                           // 000000005038: D86CA440 3F000004
	ds_read_b32 v64, v4 offset:42112                           // 000000005040: D86CA480 40000004
	buffer_load_dwordx4 v[164:167], v49, s[20:23], 0 offen     // 000000005048: E05C1000 8005A431
	ds_read_b32 v65, v4 offset:42176                           // 000000005050: D86CA4C0 41000004
	ds_read_b32 v66, v4 offset:42240                           // 000000005058: D86CA500 42000004
	ds_read_b32 v67, v4 offset:42304                           // 000000005060: D86CA540 43000004
	ds_read_b32 v68, v4 offset:42368                           // 000000005068: D86CA580 44000004
	ds_read_b32 v69, v4 offset:42432                           // 000000005070: D86CA5C0 45000004
	ds_read_b32 v70, v4 offset:42496                           // 000000005078: D86CA600 46000004
	ds_read_b32 v71, v4 offset:42560                           // 000000005080: D86CA640 47000004
	buffer_load_dwordx4 v[168:171], v50, s[20:23], 0 offen     // 000000005088: E05C1000 8005A832
	s_waitcnt lgkmcnt(0)                                       // 000000005090: BF8CC07F
	v_max3_f32 v8, v56, v57, v8                                // 000000005094: D1D30008 04227338
	v_max3_f32 v8, v58, v59, v8                                // 00000000509C: D1D30008 0422773A
	v_max3_f32 v8, v60, v61, v8                                // 0000000050A4: D1D30008 04227B3C
	v_max3_f32 v8, v62, v63, v8                                // 0000000050AC: D1D30008 04227F3E
	v_max3_f32 v8, v64, v65, v8                                // 0000000050B4: D1D30008 04228340
	v_max3_f32 v8, v66, v67, v8                                // 0000000050BC: D1D30008 04228742
	v_max3_f32 v8, v68, v69, v8                                // 0000000050C4: D1D30008 04228B44
	v_max3_f32 v8, v70, v71, v8                                // 0000000050CC: D1D30008 04228F46
	buffer_load_dwordx4 v[172:175], v51, s[20:23], 0 offen     // 0000000050D4: E05C1000 8005AC33
	v_cmp_eq_u32_e64 s[34:35], v11, v12                        // 0000000050DC: D0CA0022 0002190B
	v_max_f32_e32 v13, v8, v12                                 // 0000000050E4: 161A1908
	v_sub_f32_e32 v18, v12, v13                                // 0000000050E8: 04241B0C
	v_cndmask_b32_e64 v18, v18, 0, s[34:35]                    // 0000000050EC: D1000012 00890112
	v_mov_b32_e32 v12, v13                                     // 0000000050F4: 7E18030D
	v_mul_f32_e32 v9, s5, v13                                  // 0000000050F8: 0A121A05
	v_mul_f32_e32 v18, s5, v18                                 // 0000000050FC: 0A242405
	v_exp_f32_e32 v18, v18                                     // 000000005100: 7E244112
	buffer_load_dwordx4 v[176:179], v52, s[20:23], 0 offen     // 000000005104: E05C1000 8005B034
	v_fma_f32 v88, v88, s5, -v9                                // 00000000510C: D1CB0058 84240B58
	v_fma_f32 v89, v89, s5, -v9                                // 000000005114: D1CB0059 84240B59
	v_fma_f32 v90, v90, s5, -v9                                // 00000000511C: D1CB005A 84240B5A
	v_fma_f32 v91, v91, s5, -v9                                // 000000005124: D1CB005B 84240B5B
	v_exp_f32_e32 v88, v88                                     // 00000000512C: 7EB04158
	v_exp_f32_e32 v89, v89                                     // 000000005130: 7EB24159
	v_exp_f32_e32 v90, v90                                     // 000000005134: 7EB4415A
	v_exp_f32_e32 v91, v91                                     // 000000005138: 7EB6415B
	buffer_load_dwordx4 v[180:183], v53, s[20:23], 0 offen     // 00000000513C: E05C1000 8005B435
	v_mul_f32_e32 v14, v18, v14                                // 000000005144: 0A1C1D12
	v_mov_b32_e32 v15, v88                                     // 000000005148: 7E1E0358
	v_add_f32_e32 v15, v89, v15                                // 00000000514C: 021E1F59
	v_add_f32_e32 v15, v90, v15                                // 000000005150: 021E1F5A
	v_add_f32_e32 v15, v91, v15                                // 000000005154: 021E1F5B
	v_add_f32_e32 v14, v15, v14                                // 000000005158: 021C1D0F
	buffer_load_dwordx4 v[184:187], v54, s[20:23], 0 offen     // 00000000515C: E05C1000 8005B836
	v_cmp_u_f32_e64 s[34:35], v88, v88                         // 000000005164: D0480022 0002B158
	v_add3_u32 v28, v88, v31, 1                                // 00000000516C: D1FF001C 02063F58
	v_cndmask_b32_e64 v32, v28, v30, s[34:35]                  // 000000005174: D1000020 008A3D1C
	v_cmp_u_f32_e64 s[34:35], v89, v89                         // 00000000517C: D0480022 0002B359
	v_add3_u32 v28, v89, v31, 1                                // 000000005184: D1FF001C 02063F59
	v_cndmask_b32_e64 v33, v28, v30, s[34:35]                  // 00000000518C: D1000021 008A3D1C
	v_perm_b32 v88, v33, v32, s52                              // 000000005194: D1ED0058 00D24121
	v_cmp_u_f32_e64 s[34:35], v90, v90                         // 00000000519C: D0480022 0002B55A
	v_add3_u32 v28, v90, v31, 1                                // 0000000051A4: D1FF001C 02063F5A
	v_cndmask_b32_e64 v32, v28, v30, s[34:35]                  // 0000000051AC: D1000020 008A3D1C
	v_cmp_u_f32_e64 s[34:35], v91, v91                         // 0000000051B4: D0480022 0002B75B
	v_add3_u32 v28, v91, v31, 1                                // 0000000051BC: D1FF001C 02063F5B
	v_cndmask_b32_e64 v33, v28, v30, s[34:35]                  // 0000000051C4: D1000021 008A3D1C
	v_perm_b32 v89, v33, v32, s52                              // 0000000051CC: D1ED0059 00D24121
	ds_write_b64 v7, v[88:89] offset:42624                     // 0000000051D4: D89AA680 00005807
	buffer_load_dwordx4 v[188:191], v55, s[20:23], 0 offen     // 0000000051DC: E05C1000 8005BC37
	s_waitcnt lgkmcnt(0)                                       // 0000000051E4: BF8CC07F
	s_barrier                                                  // 0000000051E8: BF8A0000
	ds_read_b64 v[88:89], v6 offset:42624                      // 0000000051EC: D8ECA680 58000006
	ds_read_b64 v[90:91], v6 offset:42752                      // 0000000051F4: D8ECA700 5A000006
	ds_read_b64 v[92:93], v6 offset:43648                      // 0000000051FC: D8ECAA80 5C000006
	ds_read_b64 v[94:95], v6 offset:43776                      // 000000005204: D8ECAB00 5E000006
	v_mul_u32_u24_dpp v40, v25, v10 row_newbcast:0 row_mask:0xf bank_mask:0xf// 00000000520C: 105014FA FF015019
	v_mul_u32_u24_dpp v41, v25, v10 row_newbcast:1 row_mask:0xf bank_mask:0xf// 000000005214: 105214FA FF015119
	v_mul_u32_u24_dpp v42, v25, v10 row_newbcast:2 row_mask:0xf bank_mask:0xf// 00000000521C: 105414FA FF015219
	v_mul_u32_u24_dpp v43, v25, v10 row_newbcast:3 row_mask:0xf bank_mask:0xf// 000000005224: 105614FA FF015319
	v_mul_u32_u24_dpp v44, v25, v10 row_newbcast:4 row_mask:0xf bank_mask:0xf// 00000000522C: 105814FA FF015419
	v_mul_u32_u24_dpp v45, v25, v10 row_newbcast:5 row_mask:0xf bank_mask:0xf// 000000005234: 105A14FA FF015519
	v_mul_u32_u24_dpp v46, v25, v10 row_newbcast:6 row_mask:0xf bank_mask:0xf// 00000000523C: 105C14FA FF015619
	v_mul_u32_u24_dpp v47, v25, v10 row_newbcast:7 row_mask:0xf bank_mask:0xf// 000000005244: 105E14FA FF015719
	v_mul_u32_u24_dpp v48, v25, v10 row_newbcast:8 row_mask:0xf bank_mask:0xf// 00000000524C: 106014FA FF015819
	v_mul_u32_u24_dpp v49, v25, v10 row_newbcast:9 row_mask:0xf bank_mask:0xf// 000000005254: 106214FA FF015919
	v_mul_u32_u24_dpp v50, v25, v10 row_newbcast:10 row_mask:0xf bank_mask:0xf// 00000000525C: 106414FA FF015A19
	v_mul_u32_u24_dpp v51, v25, v10 row_newbcast:11 row_mask:0xf bank_mask:0xf// 000000005264: 106614FA FF015B19
	v_mul_u32_u24_dpp v52, v25, v10 row_newbcast:12 row_mask:0xf bank_mask:0xf// 00000000526C: 106814FA FF015C19
	v_mul_u32_u24_dpp v53, v25, v10 row_newbcast:13 row_mask:0xf bank_mask:0xf// 000000005274: 106A14FA FF015D19
	v_mul_u32_u24_dpp v54, v25, v10 row_newbcast:14 row_mask:0xf bank_mask:0xf// 00000000527C: 106C14FA FF015E19
	v_mul_u32_u24_dpp v55, v25, v10 row_newbcast:15 row_mask:0xf bank_mask:0xf// 000000005284: 106E14FA FF015F19
	s_mov_b32 s56, m0                                          // 00000000528C: BEB8007C
	s_set_gpr_idx_on s51, gpr_idx(SRC0)                        // 000000005290: BF110133
	v_add_u32_e32 v36, v40, v3                                 // 000000005294: 68480728
	v_add_u32_e32 v37, v41, v3                                 // 000000005298: 684A0729
	v_add_u32_e32 v38, v42, v3                                 // 00000000529C: 684C072A
	v_add_u32_e32 v39, v43, v3                                 // 0000000052A0: 684E072B
	s_set_gpr_idx_off                                          // 0000000052A4: BF9C0000
	s_mov_b32 m0, s56                                          // 0000000052A8: BEFC0038
	v_add_u32_e32 v40, v40, v2                                 // 0000000052AC: 68500528
	v_add_u32_e32 v41, v41, v2                                 // 0000000052B0: 68520529
	v_add_u32_e32 v42, v42, v2                                 // 0000000052B4: 6854052A
	v_add_u32_e32 v43, v43, v2                                 // 0000000052B8: 6856052B
	v_add_u32_e32 v44, v44, v2                                 // 0000000052BC: 6858052C
	v_add_u32_e32 v45, v45, v2                                 // 0000000052C0: 685A052D
	v_add_u32_e32 v46, v46, v2                                 // 0000000052C4: 685C052E
	v_add_u32_e32 v47, v47, v2                                 // 0000000052C8: 685E052F
	v_add_u32_e32 v48, v48, v2                                 // 0000000052CC: 68600530
	v_add_u32_e32 v49, v49, v2                                 // 0000000052D0: 68620531
	v_add_u32_e32 v50, v50, v2                                 // 0000000052D4: 68640532
	v_add_u32_e32 v51, v51, v2                                 // 0000000052D8: 68660533
	v_add_u32_e32 v52, v52, v2                                 // 0000000052DC: 68680534
	v_add_u32_e32 v53, v53, v2                                 // 0000000052E0: 686A0535
	v_add_u32_e32 v54, v54, v2                                 // 0000000052E4: 686C0536
	v_add_u32_e32 v55, v55, v2                                 // 0000000052E8: 686E0537
	s_waitcnt lgkmcnt(0)                                       // 0000000052EC: BF8CC07F
	s_add_u32 s83, s84, s83                                    // 0000000052F0: 80535354
	v_mul_f32_e32 v96, v18, v96                                // 0000000052F4: 0AC0C112
	v_mul_f32_e32 v97, v18, v97                                // 0000000052F8: 0AC2C312
	v_mul_f32_e32 v98, v18, v98                                // 0000000052FC: 0AC4C512
	v_mul_f32_e32 v99, v18, v99                                // 000000005300: 0AC6C712
	v_mul_f32_e32 v100, v18, v100                              // 000000005304: 0AC8C912
	v_mul_f32_e32 v101, v18, v101                              // 000000005308: 0ACACB12
	v_mul_f32_e32 v102, v18, v102                              // 00000000530C: 0ACCCD12
	v_mul_f32_e32 v103, v18, v103                              // 000000005310: 0ACECF12
	v_mul_f32_e32 v104, v18, v104                              // 000000005314: 0AD0D112
	v_mul_f32_e32 v105, v18, v105                              // 000000005318: 0AD2D312
	v_mul_f32_e32 v106, v18, v106                              // 00000000531C: 0AD4D512
	v_mul_f32_e32 v107, v18, v107                              // 000000005320: 0AD6D712
	v_mul_f32_e32 v108, v18, v108                              // 000000005324: 0AD8D912
	v_mul_f32_e32 v109, v18, v109                              // 000000005328: 0ADADB12
	v_mul_f32_e32 v110, v18, v110                              // 00000000532C: 0ADCDD12
	v_mul_f32_e32 v111, v18, v111                              // 000000005330: 0ADEDF12
	v_mul_f32_e32 v112, v18, v112                              // 000000005334: 0AE0E112
	v_mul_f32_e32 v113, v18, v113                              // 000000005338: 0AE2E312
	v_mul_f32_e32 v114, v18, v114                              // 00000000533C: 0AE4E512
	v_mul_f32_e32 v115, v18, v115                              // 000000005340: 0AE6E712
	v_mul_f32_e32 v116, v18, v116                              // 000000005344: 0AE8E912
	v_mul_f32_e32 v117, v18, v117                              // 000000005348: 0AEAEB12
	v_mul_f32_e32 v118, v18, v118                              // 00000000534C: 0AECED12
	v_mul_f32_e32 v119, v18, v119                              // 000000005350: 0AEEEF12
	v_mul_f32_e32 v120, v18, v120                              // 000000005354: 0AF0F112
	v_mul_f32_e32 v121, v18, v121                              // 000000005358: 0AF2F312
	v_mul_f32_e32 v122, v18, v122                              // 00000000535C: 0AF4F512
	v_mul_f32_e32 v123, v18, v123                              // 000000005360: 0AF6F712
	v_mul_f32_e32 v124, v18, v124                              // 000000005364: 0AF8F912
	v_mul_f32_e32 v125, v18, v125                              // 000000005368: 0AFAFB12
	v_mul_f32_e32 v126, v18, v126                              // 00000000536C: 0AFCFD12
	v_mul_f32_e32 v127, v18, v127                              // 000000005370: 0AFEFF12
	s_waitcnt vmcnt(25)                                        // 000000005374: BF8C4F79
	v_mfma_f32_16x16x16_bf16 v[96:99], a[144:145], v[88:89], v[96:99]// 000000005378: D3E10060 0D82B190
	ds_write_b128 v20, v[224:227]                              // 000000005380: D9BE0000 0000E014
	v_mfma_f32_16x16x16_bf16 v[96:99], a[146:147], v[90:91], v[96:99]// 000000005388: D3E10060 0D82B592
	v_mfma_f32_16x16x16_bf16 v[96:99], a[148:149], v[92:93], v[96:99]// 000000005390: D3E10060 0D82B994
	ds_write_b128 v20, v[228:231] offset:8224                  // 000000005398: D9BE2020 0000E414
	v_mfma_f32_16x16x16_bf16 v[96:99], a[150:151], v[94:95], v[96:99]// 0000000053A0: D3E10060 0D82BD96
	v_mfma_f32_16x16x16_bf16 v[100:103], a[152:153], v[88:89], v[100:103]// 0000000053A8: D3E10064 0D92B198
	ds_write_b128 v20, v[232:235] offset:16448                 // 0000000053B0: D9BE4040 0000E814
	v_mfma_f32_16x16x16_bf16 v[100:103], a[154:155], v[90:91], v[100:103]// 0000000053B8: D3E10064 0D92B59A
	v_mfma_f32_16x16x16_bf16 v[100:103], a[156:157], v[92:93], v[100:103]// 0000000053C0: D3E10064 0D92B99C
	ds_write_b128 v20, v[236:239] offset:24672                 // 0000000053C8: D9BE6060 0000EC14
	v_mfma_f32_16x16x16_bf16 v[100:103], a[158:159], v[94:95], v[100:103]// 0000000053D0: D3E10064 0D92BD9E
	v_mfma_f32_16x16x16_bf16 v[104:107], a[160:161], v[88:89], v[104:107]// 0000000053D8: D3E10068 0DA2B1A0
	ds_write_b128 v20, v[240:243] offset:1024                  // 0000000053E0: D9BE0400 0000F014
	v_mfma_f32_16x16x16_bf16 v[104:107], a[162:163], v[90:91], v[104:107]// 0000000053E8: D3E10068 0DA2B5A2
	v_mfma_f32_16x16x16_bf16 v[104:107], a[164:165], v[92:93], v[104:107]// 0000000053F0: D3E10068 0DA2B9A4
	ds_write_b128 v20, v[244:247] offset:9248                  // 0000000053F8: D9BE2420 0000F414
	v_mfma_f32_16x16x16_bf16 v[104:107], a[166:167], v[94:95], v[104:107]// 000000005400: D3E10068 0DA2BDA6
	v_mfma_f32_16x16x16_bf16 v[108:111], a[168:169], v[88:89], v[108:111]// 000000005408: D3E1006C 0DB2B1A8
	ds_write_b128 v20, v[248:251] offset:17472                 // 000000005410: D9BE4440 0000F814
	v_mfma_f32_16x16x16_bf16 v[108:111], a[170:171], v[90:91], v[108:111]// 000000005418: D3E1006C 0DB2B5AA
	v_mfma_f32_16x16x16_bf16 v[108:111], a[172:173], v[92:93], v[108:111]// 000000005420: D3E1006C 0DB2B9AC
	ds_write_b128 v20, v[252:255] offset:25696                 // 000000005428: D9BE6460 0000FC14
	v_mfma_f32_16x16x16_bf16 v[108:111], a[174:175], v[94:95], v[108:111]// 000000005430: D3E1006C 0DB2BDAE
	v_mfma_f32_16x16x16_bf16 v[112:115], a[176:177], v[88:89], v[112:115]// 000000005438: D3E10070 0DC2B1B0
	ds_read_b64 a[136:137], v23 offset:32896                   // 000000005440: DAEC8080 88000017
	ds_read_b64 a[138:139], v23 offset:32904                   // 000000005448: DAEC8088 8A000017
	v_mfma_f32_16x16x16_bf16 v[112:115], a[178:179], v[90:91], v[112:115]// 000000005450: D3E10070 0DC2B5B2
	v_mfma_f32_16x16x16_bf16 v[112:115], a[180:181], v[92:93], v[112:115]// 000000005458: D3E10070 0DC2B9B4
	ds_read_b64 a[140:141], v23 offset:32960                   // 000000005460: DAEC80C0 8C000017
	ds_read_b64 a[142:143], v23 offset:32968                   // 000000005468: DAEC80C8 8E000017
	v_mfma_f32_16x16x16_bf16 v[112:115], a[182:183], v[94:95], v[112:115]// 000000005470: D3E10070 0DC2BDB6
	s_waitcnt lgkmcnt(8)                                       // 000000005478: BF8CC87F
	s_barrier                                                  // 00000000547C: BF8A0000
	v_mfma_f32_16x16x16_bf16 v[116:119], a[184:185], v[88:89], v[116:119]// 000000005480: D3E10074 0DD2B1B8
	ds_read_b128 a[72:75], v22                                 // 000000005488: DBFE0000 48000016
	v_mfma_f32_16x16x16_bf16 v[116:119], a[186:187], v[90:91], v[116:119]// 000000005490: D3E10074 0DD2B5BA
	ds_read_b128 a[76:79], v22 offset:64                       // 000000005498: DBFE0040 4C000016
	v_mfma_f32_16x16x16_bf16 v[116:119], a[188:189], v[92:93], v[116:119]// 0000000054A0: D3E10074 0DD2B9BC
	ds_read_b128 a[80:83], v22 offset:128                      // 0000000054A8: DBFE0080 50000016
	v_mfma_f32_16x16x16_bf16 v[116:119], a[190:191], v[94:95], v[116:119]// 0000000054B0: D3E10074 0DD2BDBE
	ds_read_b128 a[84:87], v22 offset:192                      // 0000000054B8: DBFE00C0 54000016
	v_mfma_f32_16x16x16_bf16 v[120:123], a[192:193], v[88:89], v[120:123]// 0000000054C0: D3E10078 0DE2B1C0
	ds_read_b128 a[88:91], v22 offset:256                      // 0000000054C8: DBFE0100 58000016
	v_mfma_f32_16x16x16_bf16 v[120:123], a[194:195], v[90:91], v[120:123]// 0000000054D0: D3E10078 0DE2B5C2
	ds_read_b128 a[92:95], v22 offset:320                      // 0000000054D8: DBFE0140 5C000016
	v_mfma_f32_16x16x16_bf16 v[120:123], a[196:197], v[92:93], v[120:123]// 0000000054E0: D3E10078 0DE2B9C4
	ds_read_b128 a[96:99], v22 offset:384                      // 0000000054E8: DBFE0180 60000016
	v_mfma_f32_16x16x16_bf16 v[120:123], a[198:199], v[94:95], v[120:123]// 0000000054F0: D3E10078 0DE2BDC6
	ds_read_b128 a[100:103], v22 offset:448                    // 0000000054F8: DBFE01C0 64000016
	v_mfma_f32_16x16x16_bf16 v[124:127], a[200:201], v[88:89], v[124:127]// 000000005500: D3E1007C 0DF2B1C8
	ds_read_b128 a[104:107], v22 offset:512                    // 000000005508: DBFE0200 68000016
	v_mfma_f32_16x16x16_bf16 v[124:127], a[202:203], v[90:91], v[124:127]// 000000005510: D3E1007C 0DF2B5CA
	ds_read_b128 a[108:111], v22 offset:576                    // 000000005518: DBFE0240 6C000016
	v_mfma_f32_16x16x16_bf16 v[124:127], a[204:205], v[92:93], v[124:127]// 000000005520: D3E1007C 0DF2B9CC
	ds_read_b128 a[112:115], v22 offset:640                    // 000000005528: DBFE0280 70000016
	v_mfma_f32_16x16x16_bf16 v[124:127], a[206:207], v[94:95], v[124:127]// 000000005530: D3E1007C 0DF2BDCE
	ds_read_b128 a[116:119], v22 offset:704                    // 000000005538: DBFE02C0 74000016
	ds_read_b128 a[120:123], v22 offset:768                    // 000000005540: DBFE0300 78000016
	ds_read_b128 a[124:127], v22 offset:832                    // 000000005548: DBFE0340 7C000016
	ds_read_b128 a[128:131], v22 offset:896                    // 000000005550: DBFE0380 80000016
	ds_read_b128 a[132:135], v22 offset:960                    // 000000005558: DBFE03C0 84000016
	v_perm_b32 v56, v196, v192, s53                            // 000000005560: D1ED0038 00D781C4
	v_perm_b32 v57, v196, v192, s52                            // 000000005568: D1ED0039 00D381C4
	v_perm_b32 v58, v204, v200, s53                            // 000000005570: D1ED003A 00D791CC
	v_perm_b32 v59, v204, v200, s52                            // 000000005578: D1ED003B 00D391CC
	v_perm_b32 v60, v212, v208, s53                            // 000000005580: D1ED003C 00D7A1D4
	v_perm_b32 v61, v212, v208, s52                            // 000000005588: D1ED003D 00D3A1D4
	v_perm_b32 v62, v220, v216, s53                            // 000000005590: D1ED003E 00D7B1DC
	v_perm_b32 v63, v220, v216, s52                            // 000000005598: D1ED003F 00D3B1DC
	v_accvgpr_write_b32 a144, v56                              // 0000000055A0: D3D94090 18000138
	v_accvgpr_write_b32 a152, v57                              // 0000000055A8: D3D94098 18000139
	v_accvgpr_write_b32 a145, v58                              // 0000000055B0: D3D94091 1800013A
	v_accvgpr_write_b32 a153, v59                              // 0000000055B8: D3D94099 1800013B
	v_accvgpr_write_b32 a146, v60                              // 0000000055C0: D3D94092 1800013C
	v_accvgpr_write_b32 a154, v61                              // 0000000055C8: D3D9409A 1800013D
	v_accvgpr_write_b32 a147, v62                              // 0000000055D0: D3D94093 1800013E
	v_accvgpr_write_b32 a155, v63                              // 0000000055D8: D3D9409B 1800013F
	v_perm_b32 v56, v228, v224, s53                            // 0000000055E0: D1ED0038 00D7C1E4
	v_perm_b32 v57, v228, v224, s52                            // 0000000055E8: D1ED0039 00D3C1E4
	v_perm_b32 v58, v236, v232, s53                            // 0000000055F0: D1ED003A 00D7D1EC
	v_perm_b32 v59, v236, v232, s52                            // 0000000055F8: D1ED003B 00D3D1EC
	v_perm_b32 v60, v244, v240, s53                            // 000000005600: D1ED003C 00D7E1F4
	v_perm_b32 v61, v244, v240, s52                            // 000000005608: D1ED003D 00D3E1F4
	v_perm_b32 v62, v252, v248, s53                            // 000000005610: D1ED003E 00D7F1FC
	v_perm_b32 v63, v252, v248, s52                            // 000000005618: D1ED003F 00D3F1FC
	v_accvgpr_write_b32 a148, v56                              // 000000005620: D3D94094 18000138
	v_accvgpr_write_b32 a156, v57                              // 000000005628: D3D9409C 18000139
	v_accvgpr_write_b32 a149, v58                              // 000000005630: D3D94095 1800013A
	v_accvgpr_write_b32 a157, v59                              // 000000005638: D3D9409D 1800013B
	v_accvgpr_write_b32 a150, v60                              // 000000005640: D3D94096 1800013C
	v_accvgpr_write_b32 a158, v61                              // 000000005648: D3D9409E 1800013D
	v_accvgpr_write_b32 a151, v62                              // 000000005650: D3D94097 1800013E
	v_accvgpr_write_b32 a159, v63                              // 000000005658: D3D9409F 1800013F
	v_perm_b32 v56, v197, v193, s53                            // 000000005660: D1ED0038 00D783C5
	v_perm_b32 v57, v197, v193, s52                            // 000000005668: D1ED0039 00D383C5
	v_perm_b32 v58, v205, v201, s53                            // 000000005670: D1ED003A 00D793CD
	v_perm_b32 v59, v205, v201, s52                            // 000000005678: D1ED003B 00D393CD
	v_perm_b32 v60, v213, v209, s53                            // 000000005680: D1ED003C 00D7A3D5
	v_perm_b32 v61, v213, v209, s52                            // 000000005688: D1ED003D 00D3A3D5
	v_perm_b32 v62, v221, v217, s53                            // 000000005690: D1ED003E 00D7B3DD
	v_perm_b32 v63, v221, v217, s52                            // 000000005698: D1ED003F 00D3B3DD
	v_accvgpr_write_b32 a160, v56                              // 0000000056A0: D3D940A0 18000138
	v_accvgpr_write_b32 a168, v57                              // 0000000056A8: D3D940A8 18000139
	v_accvgpr_write_b32 a161, v58                              // 0000000056B0: D3D940A1 1800013A
	v_accvgpr_write_b32 a169, v59                              // 0000000056B8: D3D940A9 1800013B
	v_accvgpr_write_b32 a162, v60                              // 0000000056C0: D3D940A2 1800013C
	v_accvgpr_write_b32 a170, v61                              // 0000000056C8: D3D940AA 1800013D
	v_accvgpr_write_b32 a163, v62                              // 0000000056D0: D3D940A3 1800013E
	v_accvgpr_write_b32 a171, v63                              // 0000000056D8: D3D940AB 1800013F
	v_perm_b32 v56, v229, v225, s53                            // 0000000056E0: D1ED0038 00D7C3E5
	v_perm_b32 v57, v229, v225, s52                            // 0000000056E8: D1ED0039 00D3C3E5
	v_perm_b32 v58, v237, v233, s53                            // 0000000056F0: D1ED003A 00D7D3ED
	v_perm_b32 v59, v237, v233, s52                            // 0000000056F8: D1ED003B 00D3D3ED
	v_perm_b32 v60, v245, v241, s53                            // 000000005700: D1ED003C 00D7E3F5
	v_perm_b32 v61, v245, v241, s52                            // 000000005708: D1ED003D 00D3E3F5
	v_perm_b32 v62, v253, v249, s53                            // 000000005710: D1ED003E 00D7F3FD
	v_perm_b32 v63, v253, v249, s52                            // 000000005718: D1ED003F 00D3F3FD
	v_accvgpr_write_b32 a164, v56                              // 000000005720: D3D940A4 18000138
	v_accvgpr_write_b32 a172, v57                              // 000000005728: D3D940AC 18000139
	v_accvgpr_write_b32 a165, v58                              // 000000005730: D3D940A5 1800013A
	v_accvgpr_write_b32 a173, v59                              // 000000005738: D3D940AD 1800013B
	v_accvgpr_write_b32 a166, v60                              // 000000005740: D3D940A6 1800013C
	v_accvgpr_write_b32 a174, v61                              // 000000005748: D3D940AE 1800013D
	v_accvgpr_write_b32 a167, v62                              // 000000005750: D3D940A7 1800013E
	v_accvgpr_write_b32 a175, v63                              // 000000005758: D3D940AF 1800013F
	v_perm_b32 v56, v198, v194, s53                            // 000000005760: D1ED0038 00D785C6
	v_perm_b32 v57, v198, v194, s52                            // 000000005768: D1ED0039 00D385C6
	v_perm_b32 v58, v206, v202, s53                            // 000000005770: D1ED003A 00D795CE
	v_perm_b32 v59, v206, v202, s52                            // 000000005778: D1ED003B 00D395CE
	v_perm_b32 v60, v214, v210, s53                            // 000000005780: D1ED003C 00D7A5D6
	v_perm_b32 v61, v214, v210, s52                            // 000000005788: D1ED003D 00D3A5D6
	v_perm_b32 v62, v222, v218, s53                            // 000000005790: D1ED003E 00D7B5DE
	v_perm_b32 v63, v222, v218, s52                            // 000000005798: D1ED003F 00D3B5DE
	v_accvgpr_write_b32 a176, v56                              // 0000000057A0: D3D940B0 18000138
	v_accvgpr_write_b32 a184, v57                              // 0000000057A8: D3D940B8 18000139
	v_accvgpr_write_b32 a177, v58                              // 0000000057B0: D3D940B1 1800013A
	v_accvgpr_write_b32 a185, v59                              // 0000000057B8: D3D940B9 1800013B
	v_accvgpr_write_b32 a178, v60                              // 0000000057C0: D3D940B2 1800013C
	v_accvgpr_write_b32 a186, v61                              // 0000000057C8: D3D940BA 1800013D
	v_accvgpr_write_b32 a179, v62                              // 0000000057D0: D3D940B3 1800013E
	v_accvgpr_write_b32 a187, v63                              // 0000000057D8: D3D940BB 1800013F
	v_perm_b32 v56, v230, v226, s53                            // 0000000057E0: D1ED0038 00D7C5E6
	v_perm_b32 v57, v230, v226, s52                            // 0000000057E8: D1ED0039 00D3C5E6
	v_perm_b32 v58, v238, v234, s53                            // 0000000057F0: D1ED003A 00D7D5EE
	v_perm_b32 v59, v238, v234, s52                            // 0000000057F8: D1ED003B 00D3D5EE
	v_perm_b32 v60, v246, v242, s53                            // 000000005800: D1ED003C 00D7E5F6
	v_perm_b32 v61, v246, v242, s52                            // 000000005808: D1ED003D 00D3E5F6
	v_perm_b32 v62, v254, v250, s53                            // 000000005810: D1ED003E 00D7F5FE
	v_perm_b32 v63, v254, v250, s52                            // 000000005818: D1ED003F 00D3F5FE
	v_accvgpr_write_b32 a180, v56                              // 000000005820: D3D940B4 18000138
	v_accvgpr_write_b32 a188, v57                              // 000000005828: D3D940BC 18000139
	v_accvgpr_write_b32 a181, v58                              // 000000005830: D3D940B5 1800013A
	v_accvgpr_write_b32 a189, v59                              // 000000005838: D3D940BD 1800013B
	v_accvgpr_write_b32 a182, v60                              // 000000005840: D3D940B6 1800013C
	v_accvgpr_write_b32 a190, v61                              // 000000005848: D3D940BE 1800013D
	v_accvgpr_write_b32 a183, v62                              // 000000005850: D3D940B7 1800013E
	v_accvgpr_write_b32 a191, v63                              // 000000005858: D3D940BF 1800013F
	v_perm_b32 v56, v199, v195, s53                            // 000000005860: D1ED0038 00D787C7
	v_perm_b32 v57, v199, v195, s52                            // 000000005868: D1ED0039 00D387C7
	v_perm_b32 v58, v207, v203, s53                            // 000000005870: D1ED003A 00D797CF
	v_perm_b32 v59, v207, v203, s52                            // 000000005878: D1ED003B 00D397CF
	v_perm_b32 v60, v215, v211, s53                            // 000000005880: D1ED003C 00D7A7D7
	v_perm_b32 v61, v215, v211, s52                            // 000000005888: D1ED003D 00D3A7D7
	v_perm_b32 v62, v223, v219, s53                            // 000000005890: D1ED003E 00D7B7DF
	v_perm_b32 v63, v223, v219, s52                            // 000000005898: D1ED003F 00D3B7DF
	v_accvgpr_write_b32 a192, v56                              // 0000000058A0: D3D940C0 18000138
	v_accvgpr_write_b32 a200, v57                              // 0000000058A8: D3D940C8 18000139
	v_accvgpr_write_b32 a193, v58                              // 0000000058B0: D3D940C1 1800013A
	v_accvgpr_write_b32 a201, v59                              // 0000000058B8: D3D940C9 1800013B
	v_accvgpr_write_b32 a194, v60                              // 0000000058C0: D3D940C2 1800013C
	v_accvgpr_write_b32 a202, v61                              // 0000000058C8: D3D940CA 1800013D
	v_accvgpr_write_b32 a195, v62                              // 0000000058D0: D3D940C3 1800013E
	v_accvgpr_write_b32 a203, v63                              // 0000000058D8: D3D940CB 1800013F
	v_perm_b32 v56, v231, v227, s53                            // 0000000058E0: D1ED0038 00D7C7E7
	v_perm_b32 v57, v231, v227, s52                            // 0000000058E8: D1ED0039 00D3C7E7
	v_perm_b32 v58, v239, v235, s53                            // 0000000058F0: D1ED003A 00D7D7EF
	v_perm_b32 v59, v239, v235, s52                            // 0000000058F8: D1ED003B 00D3D7EF
	v_perm_b32 v60, v247, v243, s53                            // 000000005900: D1ED003C 00D7E7F7
	v_perm_b32 v61, v247, v243, s52                            // 000000005908: D1ED003D 00D3E7F7
	v_perm_b32 v62, v255, v251, s53                            // 000000005910: D1ED003E 00D7F7FF
	v_perm_b32 v63, v255, v251, s52                            // 000000005918: D1ED003F 00D3F7FF
	v_accvgpr_write_b32 a196, v56                              // 000000005920: D3D940C4 18000138
	v_accvgpr_write_b32 a204, v57                              // 000000005928: D3D940CC 18000139
	v_accvgpr_write_b32 a197, v58                              // 000000005930: D3D940C5 1800013A
	v_accvgpr_write_b32 a205, v59                              // 000000005938: D3D940CD 1800013B
	v_accvgpr_write_b32 a198, v60                              // 000000005940: D3D940C6 1800013C
	v_accvgpr_write_b32 a206, v61                              // 000000005948: D3D940CE 1800013D
	v_accvgpr_write_b32 a199, v62                              // 000000005950: D3D940C7 1800013E
	v_accvgpr_write_b32 a207, v63                              // 000000005958: D3D940CF 1800013F
	s_addk_i32 s70, 0x1                                        // 000000005960: B7460001
	s_cmp_lt_i32 s70, s71                                      // 000000005964: BF044746
	s_cbranch_scc0 label_0ABE                                  // 000000005968: BF84FCE3
	s_waitcnt vmcnt(8) lgkmcnt(0)                              // 00000000596C: BF8C0078
	s_barrier                                                  // 000000005970: BF8A0000
	v_mfma_f32_16x16x16_bf16 v[88:91], a[72:73], a[0:1], 0     // 000000005974: D3E10058 1A020148
	buffer_load_dwordx4 v[192:195], v40, s[20:23], 0 offen     // 00000000597C: E05C1000 8005C028
	v_mfma_f32_16x16x16_bf16 v[88:91], a[74:75], a[2:3], v[88:91]// 000000005984: D3E10058 1D62054A
	ds_write_b128 v20, v[128:131]                              // 00000000598C: D9BE0000 00008014
	v_mfma_f32_16x16x16_bf16 v[88:91], a[76:77], a[4:5], v[88:91]// 000000005994: D3E10058 1D62094C
	buffer_load_dword v25, v26, s[24:27], 0 offen              // 00000000599C: E0501000 8006191A
	v_mfma_f32_16x16x16_bf16 v[88:91], a[78:79], a[6:7], v[88:91]// 0000000059A4: D3E10058 1D620D4E
	ds_write_b128 v20, v[132:135] offset:8224                  // 0000000059AC: D9BE2020 00008414
	v_mfma_f32_16x16x16_bf16 v[88:91], a[80:81], a[8:9], v[88:91]// 0000000059B4: D3E10058 1D621150
	buffer_load_dwordx4 v[196:199], v41, s[20:23], 0 offen     // 0000000059BC: E05C1000 8005C429
	v_mfma_f32_16x16x16_bf16 v[88:91], a[82:83], a[10:11], v[88:91]// 0000000059C4: D3E10058 1D621552
	ds_write_b128 v20, v[136:139] offset:16448                 // 0000000059CC: D9BE4040 00008814
	v_mfma_f32_16x16x16_bf16 v[88:91], a[84:85], a[12:13], v[88:91]// 0000000059D4: D3E10058 1D621954
	v_mfma_f32_16x16x16_bf16 v[88:91], a[86:87], a[14:15], v[88:91]// 0000000059DC: D3E10058 1D621D56
	ds_write_b128 v20, v[140:143] offset:24672                 // 0000000059E4: D9BE6060 00008C14
	v_mfma_f32_16x16x16_bf16 v[88:91], a[88:89], a[16:17], v[88:91]// 0000000059EC: D3E10058 1D622158
	buffer_load_dwordx4 v[200:203], v42, s[20:23], 0 offen     // 0000000059F4: E05C1000 8005C82A
	v_mfma_f32_16x16x16_bf16 v[88:91], a[90:91], a[18:19], v[88:91]// 0000000059FC: D3E10058 1D62255A
	ds_write_b128 v20, v[144:147] offset:1024                  // 000000005A04: D9BE0400 00009014
	v_mfma_f32_16x16x16_bf16 v[88:91], a[92:93], a[20:21], v[88:91]// 000000005A0C: D3E10058 1D62295C
	v_mfma_f32_16x16x16_bf16 v[88:91], a[94:95], a[22:23], v[88:91]// 000000005A14: D3E10058 1D622D5E
	ds_write_b128 v20, v[148:151] offset:9248                  // 000000005A1C: D9BE2420 00009414
	v_mfma_f32_16x16x16_bf16 v[88:91], a[96:97], a[24:25], v[88:91]// 000000005A24: D3E10058 1D623160
	buffer_load_dwordx4 v[204:207], v43, s[20:23], 0 offen     // 000000005A2C: E05C1000 8005CC2B
	v_mfma_f32_16x16x16_bf16 v[88:91], a[98:99], a[26:27], v[88:91]// 000000005A34: D3E10058 1D623562
	ds_write_b128 v20, v[152:155] offset:17472                 // 000000005A3C: D9BE4440 00009814
	v_mfma_f32_16x16x16_bf16 v[88:91], a[100:101], a[28:29], v[88:91]// 000000005A44: D3E10058 1D623964
	v_mfma_f32_16x16x16_bf16 v[88:91], a[102:103], a[30:31], v[88:91]// 000000005A4C: D3E10058 1D623D66
	ds_write_b128 v20, v[156:159] offset:25696                 // 000000005A54: D9BE6460 00009C14
	v_mfma_f32_16x16x16_bf16 v[88:91], a[104:105], a[32:33], v[88:91]// 000000005A5C: D3E10058 1D624168
	buffer_load_dwordx4 v[208:211], v44, s[20:23], 0 offen     // 000000005A64: E05C1000 8005D02C
	v_mfma_f32_16x16x16_bf16 v[88:91], a[106:107], a[34:35], v[88:91]// 000000005A6C: D3E10058 1D62456A
	ds_write_b32 v21, v72 offset:32896                         // 000000005A74: D81A8080 00004815
	ds_write_b32 v21, v73 offset:32960                         // 000000005A7C: D81A80C0 00004915
	v_mfma_f32_16x16x16_bf16 v[88:91], a[108:109], a[36:37], v[88:91]// 000000005A84: D3E10058 1D62496C
	v_mfma_f32_16x16x16_bf16 v[88:91], a[110:111], a[38:39], v[88:91]// 000000005A8C: D3E10058 1D624D6E
	ds_write_b32 v21, v74 offset:33032                         // 000000005A94: D81A8108 00004A15
	ds_write_b32 v21, v75 offset:33096                         // 000000005A9C: D81A8148 00004B15
	v_mfma_f32_16x16x16_bf16 v[88:91], a[112:113], a[40:41], v[88:91]// 000000005AA4: D3E10058 1D625170
	buffer_load_dwordx4 v[212:215], v45, s[20:23], 0 offen     // 000000005AAC: E05C1000 8005D42D
	v_mfma_f32_16x16x16_bf16 v[88:91], a[114:115], a[42:43], v[88:91]// 000000005AB4: D3E10058 1D625572
	ds_write_b32 v21, v76 offset:33168                         // 000000005ABC: D81A8190 00004C15
	ds_write_b32 v21, v77 offset:33232                         // 000000005AC4: D81A81D0 00004D15
	v_mfma_f32_16x16x16_bf16 v[88:91], a[116:117], a[44:45], v[88:91]// 000000005ACC: D3E10058 1D625974
	v_mfma_f32_16x16x16_bf16 v[88:91], a[118:119], a[46:47], v[88:91]// 000000005AD4: D3E10058 1D625D76
	ds_write_b32 v21, v78 offset:33304                         // 000000005ADC: D81A8218 00004E15
	ds_write_b32 v21, v79 offset:33368                         // 000000005AE4: D81A8258 00004F15
	s_waitcnt lgkmcnt(8)                                       // 000000005AEC: BF8CC87F
	s_barrier                                                  // 000000005AF0: BF8A0000
	v_mfma_f32_16x16x16_bf16 v[88:91], a[120:121], a[48:49], v[88:91]// 000000005AF4: D3E10058 1D626178
	buffer_load_dwordx4 v[216:219], v46, s[20:23], 0 offen     // 000000005AFC: E05C1000 8005D82E
	v_mfma_f32_16x16x16_bf16 v[88:91], a[122:123], a[50:51], v[88:91]// 000000005B04: D3E10058 1D62657A
	v_mfma_f32_16x16x16_bf16 v[88:91], a[124:125], a[52:53], v[88:91]// 000000005B0C: D3E10058 1D62697C
	v_mfma_f32_16x16x16_bf16 v[88:91], a[126:127], a[54:55], v[88:91]// 000000005B14: D3E10058 1D626D7E
	v_mfma_f32_16x16x16_bf16 v[88:91], a[128:129], a[56:57], v[88:91]// 000000005B1C: D3E10058 1D627180
	buffer_load_dwordx4 v[220:223], v47, s[20:23], 0 offen     // 000000005B24: E05C1000 8005DC2F
	v_mfma_f32_16x16x16_bf16 v[88:91], a[130:131], a[58:59], v[88:91]// 000000005B2C: D3E10058 1D627582
	v_mfma_f32_16x16x16_bf16 v[88:91], a[132:133], a[60:61], v[88:91]// 000000005B34: D3E10058 1D627984
	v_mfma_f32_16x16x16_bf16 v[88:91], a[134:135], a[62:63], v[88:91]// 000000005B3C: D3E10058 1D627D86
	v_mfma_f32_16x16x16_bf16 v[88:91], a[136:137], a[64:65], v[88:91]// 000000005B44: D3E10058 1D628188
	buffer_load_dword v80, v36, s[20:23], 0 offen              // 000000005B4C: E0501000 80055024
	buffer_load_dword v81, v36, s[20:23], 0 offen offset:64    // 000000005B54: E0501040 80055124
	v_mfma_f32_16x16x16_bf16 v[88:91], a[138:139], a[66:67], v[88:91]// 000000005B5C: D3E10058 1D62858A
	v_mfma_f32_16x16x16_bf16 v[88:91], a[140:141], a[68:69], v[88:91]// 000000005B64: D3E10058 1D62898C
	buffer_load_dword v82, v37, s[20:23], 0 offen              // 000000005B6C: E0501000 80055225
	buffer_load_dword v83, v37, s[20:23], 0 offen offset:64    // 000000005B74: E0501040 80055325
	v_mfma_f32_16x16x16_bf16 v[88:91], a[142:143], a[70:71], v[88:91]// 000000005B7C: D3E10058 1D628D8E
	v_add_u32_e32 v26, s73, v26                                // 000000005B84: 68343449
	s_cmp_le_i32 s83, s82                                      // 000000005B88: BF055253
	s_cbranch_scc1 label_0E86                                  // 000000005B8C: BF850022
	v_mov_b32_e32 v11, 0xff800000                              // 000000005B90: 7E1602FF FF800000
	v_lshrrev_b32_e32 v32, 3, v0                               // 000000005B98: 20400083
	v_and_b32_e32 v32, 1, v32                                  // 000000005B9C: 26404081
	v_add_u32_e32 v32, s82, v32                                // 000000005BA0: 68404052
	s_mul_i32 s57, s7, 16                                      // 000000005BA4: 92399007
	s_sub_u32 s56, s83, 63                                     // 000000005BA8: 80B8BF53
	v_lshrrev_b32_e32 v44, 4, v0                               // 000000005BAC: 20580084
	v_mul_i32_i24_e32 v44, 4, v44                              // 000000005BB0: 0C585884
	v_add_u32_e32 v44, s56, v44                                // 000000005BB4: 68585838
	v_add_u32_e32 v44, s57, v44                                // 000000005BB8: 68585839
	v_add_u32_e32 v45, 1, v44                                  // 000000005BBC: 685A5881
	v_add_u32_e32 v46, 2, v44                                  // 000000005BC0: 685C5882
	v_add_u32_e32 v47, 3, v44                                  // 000000005BC4: 685E5883
	v_cmp_le_u32_e64 s[34:35], v44, v32                        // 000000005BC8: D0CB0022 0002412C
	s_nop 0                                                    // 000000005BD0: BF800000
	v_cndmask_b32_e64 v88, v11, v88, s[34:35]                  // 000000005BD4: D1000058 008AB10B
	v_cmp_le_u32_e64 s[34:35], v45, v32                        // 000000005BDC: D0CB0022 0002412D
	s_nop 0                                                    // 000000005BE4: BF800000
	v_cndmask_b32_e64 v89, v11, v89, s[34:35]                  // 000000005BE8: D1000059 008AB30B
	v_cmp_le_u32_e64 s[34:35], v46, v32                        // 000000005BF0: D0CB0022 0002412E
	s_nop 0                                                    // 000000005BF8: BF800000
	v_cndmask_b32_e64 v90, v11, v90, s[34:35]                  // 000000005BFC: D100005A 008AB50B
	v_cmp_le_u32_e64 s[34:35], v47, v32                        // 000000005C04: D0CB0022 0002412F
	s_nop 0                                                    // 000000005C0C: BF800000
	v_cndmask_b32_e64 v91, v11, v91, s[34:35]                  // 000000005C10: D100005B 008AB70B

0000000000005c18 <label_0E86>:
	buffer_load_dword v84, v38, s[20:23], 0 offen              // 000000005C18: E0501000 80055426
	buffer_load_dword v85, v38, s[20:23], 0 offen offset:64    // 000000005C20: E0501040 80055526
	s_nop 8                                                    // 000000005C28: BF800008
	v_mov_b32_e32 v8, v88                                      // 000000005C2C: 7E100358
	v_max3_f32 v8, v88, v89, v8                                // 000000005C30: D1D30008 0422B358
	v_max3_f32 v8, v90, v91, v8                                // 000000005C38: D1D30008 0422B75A
	ds_write_b32 v5, v8 offset:41600                           // 000000005C40: D81AA280 00000805
	buffer_load_dword v86, v39, s[20:23], 0 offen              // 000000005C48: E0501000 80055627
	buffer_load_dword v87, v39, s[20:23], 0 offen offset:64    // 000000005C50: E0501040 80055727
	s_waitcnt lgkmcnt(0)                                       // 000000005C58: BF8CC07F
	s_barrier                                                  // 000000005C5C: BF8A0000
	ds_read_b32 v56, v4 offset:41600                           // 000000005C60: D86CA280 38000004
	buffer_load_dwordx4 v[224:227], v48, s[20:23], 0 offen     // 000000005C68: E05C1000 8005E030
	ds_read_b32 v57, v4 offset:41664                           // 000000005C70: D86CA2C0 39000004
	ds_read_b32 v58, v4 offset:41728                           // 000000005C78: D86CA300 3A000004
	ds_read_b32 v59, v4 offset:41792                           // 000000005C80: D86CA340 3B000004
	ds_read_b32 v60, v4 offset:41856                           // 000000005C88: D86CA380 3C000004
	ds_read_b32 v61, v4 offset:41920                           // 000000005C90: D86CA3C0 3D000004
	ds_read_b32 v62, v4 offset:41984                           // 000000005C98: D86CA400 3E000004
	ds_read_b32 v63, v4 offset:42048                           // 000000005CA0: D86CA440 3F000004
	ds_read_b32 v64, v4 offset:42112                           // 000000005CA8: D86CA480 40000004
	buffer_load_dwordx4 v[228:231], v49, s[20:23], 0 offen     // 000000005CB0: E05C1000 8005E431
	ds_read_b32 v65, v4 offset:42176                           // 000000005CB8: D86CA4C0 41000004
	ds_read_b32 v66, v4 offset:42240                           // 000000005CC0: D86CA500 42000004
	ds_read_b32 v67, v4 offset:42304                           // 000000005CC8: D86CA540 43000004
	ds_read_b32 v68, v4 offset:42368                           // 000000005CD0: D86CA580 44000004
	ds_read_b32 v69, v4 offset:42432                           // 000000005CD8: D86CA5C0 45000004
	ds_read_b32 v70, v4 offset:42496                           // 000000005CE0: D86CA600 46000004
	ds_read_b32 v71, v4 offset:42560                           // 000000005CE8: D86CA640 47000004
	buffer_load_dwordx4 v[232:235], v50, s[20:23], 0 offen     // 000000005CF0: E05C1000 8005E832
	s_waitcnt lgkmcnt(0)                                       // 000000005CF8: BF8CC07F
	v_max3_f32 v8, v56, v57, v8                                // 000000005CFC: D1D30008 04227338
	v_max3_f32 v8, v58, v59, v8                                // 000000005D04: D1D30008 0422773A
	v_max3_f32 v8, v60, v61, v8                                // 000000005D0C: D1D30008 04227B3C
	v_max3_f32 v8, v62, v63, v8                                // 000000005D14: D1D30008 04227F3E
	v_max3_f32 v8, v64, v65, v8                                // 000000005D1C: D1D30008 04228340
	v_max3_f32 v8, v66, v67, v8                                // 000000005D24: D1D30008 04228742
	v_max3_f32 v8, v68, v69, v8                                // 000000005D2C: D1D30008 04228B44
	v_max3_f32 v8, v70, v71, v8                                // 000000005D34: D1D30008 04228F46
	buffer_load_dwordx4 v[236:239], v51, s[20:23], 0 offen     // 000000005D3C: E05C1000 8005EC33
	v_cmp_eq_u32_e64 s[34:35], v11, v12                        // 000000005D44: D0CA0022 0002190B
	v_max_f32_e32 v13, v8, v12                                 // 000000005D4C: 161A1908
	v_sub_f32_e32 v18, v12, v13                                // 000000005D50: 04241B0C
	v_cndmask_b32_e64 v18, v18, 0, s[34:35]                    // 000000005D54: D1000012 00890112
	v_mov_b32_e32 v12, v13                                     // 000000005D5C: 7E18030D
	v_mul_f32_e32 v9, s5, v13                                  // 000000005D60: 0A121A05
	v_mul_f32_e32 v18, s5, v18                                 // 000000005D64: 0A242405
	v_exp_f32_e32 v18, v18                                     // 000000005D68: 7E244112
	buffer_load_dwordx4 v[240:243], v52, s[20:23], 0 offen     // 000000005D6C: E05C1000 8005F034
	v_fma_f32 v88, v88, s5, -v9                                // 000000005D74: D1CB0058 84240B58
	v_fma_f32 v89, v89, s5, -v9                                // 000000005D7C: D1CB0059 84240B59
	v_fma_f32 v90, v90, s5, -v9                                // 000000005D84: D1CB005A 84240B5A
	v_fma_f32 v91, v91, s5, -v9                                // 000000005D8C: D1CB005B 84240B5B
	v_exp_f32_e32 v88, v88                                     // 000000005D94: 7EB04158
	v_exp_f32_e32 v89, v89                                     // 000000005D98: 7EB24159
	v_exp_f32_e32 v90, v90                                     // 000000005D9C: 7EB4415A
	v_exp_f32_e32 v91, v91                                     // 000000005DA0: 7EB6415B
	buffer_load_dwordx4 v[244:247], v53, s[20:23], 0 offen     // 000000005DA4: E05C1000 8005F435
	v_mul_f32_e32 v14, v18, v14                                // 000000005DAC: 0A1C1D12
	v_mov_b32_e32 v15, v88                                     // 000000005DB0: 7E1E0358
	v_add_f32_e32 v15, v89, v15                                // 000000005DB4: 021E1F59
	v_add_f32_e32 v15, v90, v15                                // 000000005DB8: 021E1F5A
	v_add_f32_e32 v15, v91, v15                                // 000000005DBC: 021E1F5B
	v_add_f32_e32 v14, v15, v14                                // 000000005DC0: 021C1D0F
	buffer_load_dwordx4 v[248:251], v54, s[20:23], 0 offen     // 000000005DC4: E05C1000 8005F836
	v_cmp_u_f32_e64 s[34:35], v88, v88                         // 000000005DCC: D0480022 0002B158
	v_add3_u32 v28, v88, v31, 1                                // 000000005DD4: D1FF001C 02063F58
	v_cndmask_b32_e64 v32, v28, v30, s[34:35]                  // 000000005DDC: D1000020 008A3D1C
	v_cmp_u_f32_e64 s[34:35], v89, v89                         // 000000005DE4: D0480022 0002B359
	v_add3_u32 v28, v89, v31, 1                                // 000000005DEC: D1FF001C 02063F59
	v_cndmask_b32_e64 v33, v28, v30, s[34:35]                  // 000000005DF4: D1000021 008A3D1C
	v_perm_b32 v88, v33, v32, s52                              // 000000005DFC: D1ED0058 00D24121
	v_cmp_u_f32_e64 s[34:35], v90, v90                         // 000000005E04: D0480022 0002B55A
	v_add3_u32 v28, v90, v31, 1                                // 000000005E0C: D1FF001C 02063F5A
	v_cndmask_b32_e64 v32, v28, v30, s[34:35]                  // 000000005E14: D1000020 008A3D1C
	v_cmp_u_f32_e64 s[34:35], v91, v91                         // 000000005E1C: D0480022 0002B75B
	v_add3_u32 v28, v91, v31, 1                                // 000000005E24: D1FF001C 02063F5B
	v_cndmask_b32_e64 v33, v28, v30, s[34:35]                  // 000000005E2C: D1000021 008A3D1C
	v_perm_b32 v89, v33, v32, s52                              // 000000005E34: D1ED0059 00D24121
	ds_write_b64 v7, v[88:89] offset:42624                     // 000000005E3C: D89AA680 00005807
	buffer_load_dwordx4 v[252:255], v55, s[20:23], 0 offen     // 000000005E44: E05C1000 8005FC37
	s_waitcnt lgkmcnt(0)                                       // 000000005E4C: BF8CC07F
	s_barrier                                                  // 000000005E50: BF8A0000
	ds_read_b64 v[88:89], v6 offset:42624                      // 000000005E54: D8ECA680 58000006
	ds_read_b64 v[90:91], v6 offset:42752                      // 000000005E5C: D8ECA700 5A000006
	ds_read_b64 v[92:93], v6 offset:43648                      // 000000005E64: D8ECAA80 5C000006
	ds_read_b64 v[94:95], v6 offset:43776                      // 000000005E6C: D8ECAB00 5E000006
	v_mul_u32_u24_dpp v40, v24, v10 row_newbcast:0 row_mask:0xf bank_mask:0xf// 000000005E74: 105014FA FF015018
	v_mul_u32_u24_dpp v41, v24, v10 row_newbcast:1 row_mask:0xf bank_mask:0xf// 000000005E7C: 105214FA FF015118
	v_mul_u32_u24_dpp v42, v24, v10 row_newbcast:2 row_mask:0xf bank_mask:0xf// 000000005E84: 105414FA FF015218
	v_mul_u32_u24_dpp v43, v24, v10 row_newbcast:3 row_mask:0xf bank_mask:0xf// 000000005E8C: 105614FA FF015318
	v_mul_u32_u24_dpp v44, v24, v10 row_newbcast:4 row_mask:0xf bank_mask:0xf// 000000005E94: 105814FA FF015418
	v_mul_u32_u24_dpp v45, v24, v10 row_newbcast:5 row_mask:0xf bank_mask:0xf// 000000005E9C: 105A14FA FF015518
	v_mul_u32_u24_dpp v46, v24, v10 row_newbcast:6 row_mask:0xf bank_mask:0xf// 000000005EA4: 105C14FA FF015618
	v_mul_u32_u24_dpp v47, v24, v10 row_newbcast:7 row_mask:0xf bank_mask:0xf// 000000005EAC: 105E14FA FF015718
	v_mul_u32_u24_dpp v48, v24, v10 row_newbcast:8 row_mask:0xf bank_mask:0xf// 000000005EB4: 106014FA FF015818
	v_mul_u32_u24_dpp v49, v24, v10 row_newbcast:9 row_mask:0xf bank_mask:0xf// 000000005EBC: 106214FA FF015918
	v_mul_u32_u24_dpp v50, v24, v10 row_newbcast:10 row_mask:0xf bank_mask:0xf// 000000005EC4: 106414FA FF015A18
	v_mul_u32_u24_dpp v51, v24, v10 row_newbcast:11 row_mask:0xf bank_mask:0xf// 000000005ECC: 106614FA FF015B18
	v_mul_u32_u24_dpp v52, v24, v10 row_newbcast:12 row_mask:0xf bank_mask:0xf// 000000005ED4: 106814FA FF015C18
	v_mul_u32_u24_dpp v53, v24, v10 row_newbcast:13 row_mask:0xf bank_mask:0xf// 000000005EDC: 106A14FA FF015D18
	v_mul_u32_u24_dpp v54, v24, v10 row_newbcast:14 row_mask:0xf bank_mask:0xf// 000000005EE4: 106C14FA FF015E18
	v_mul_u32_u24_dpp v55, v24, v10 row_newbcast:15 row_mask:0xf bank_mask:0xf// 000000005EEC: 106E14FA FF015F18
	s_mov_b32 s56, m0                                          // 000000005EF4: BEB8007C
	s_set_gpr_idx_on s51, gpr_idx(SRC0)                        // 000000005EF8: BF110133
	v_add_u32_e32 v36, v40, v3                                 // 000000005EFC: 68480728
	v_add_u32_e32 v37, v41, v3                                 // 000000005F00: 684A0729
	v_add_u32_e32 v38, v42, v3                                 // 000000005F04: 684C072A
	v_add_u32_e32 v39, v43, v3                                 // 000000005F08: 684E072B
	s_set_gpr_idx_off                                          // 000000005F0C: BF9C0000
	s_mov_b32 m0, s56                                          // 000000005F10: BEFC0038
	v_add_u32_e32 v40, v40, v2                                 // 000000005F14: 68500528
	v_add_u32_e32 v41, v41, v2                                 // 000000005F18: 68520529
	v_add_u32_e32 v42, v42, v2                                 // 000000005F1C: 6854052A
	v_add_u32_e32 v43, v43, v2                                 // 000000005F20: 6856052B
	v_add_u32_e32 v44, v44, v2                                 // 000000005F24: 6858052C
	v_add_u32_e32 v45, v45, v2                                 // 000000005F28: 685A052D
	v_add_u32_e32 v46, v46, v2                                 // 000000005F2C: 685C052E
	v_add_u32_e32 v47, v47, v2                                 // 000000005F30: 685E052F
	v_add_u32_e32 v48, v48, v2                                 // 000000005F34: 68600530
	v_add_u32_e32 v49, v49, v2                                 // 000000005F38: 68620531
	v_add_u32_e32 v50, v50, v2                                 // 000000005F3C: 68640532
	v_add_u32_e32 v51, v51, v2                                 // 000000005F40: 68660533
	v_add_u32_e32 v52, v52, v2                                 // 000000005F44: 68680534
	v_add_u32_e32 v53, v53, v2                                 // 000000005F48: 686A0535
	v_add_u32_e32 v54, v54, v2                                 // 000000005F4C: 686C0536
	v_add_u32_e32 v55, v55, v2                                 // 000000005F50: 686E0537
	s_waitcnt lgkmcnt(0)                                       // 000000005F54: BF8CC07F
	s_add_u32 s83, s84, s83                                    // 000000005F58: 80535354
	v_mul_f32_e32 v96, v18, v96                                // 000000005F5C: 0AC0C112
	v_mul_f32_e32 v97, v18, v97                                // 000000005F60: 0AC2C312
	v_mul_f32_e32 v98, v18, v98                                // 000000005F64: 0AC4C512
	v_mul_f32_e32 v99, v18, v99                                // 000000005F68: 0AC6C712
	v_mul_f32_e32 v100, v18, v100                              // 000000005F6C: 0AC8C912
	v_mul_f32_e32 v101, v18, v101                              // 000000005F70: 0ACACB12
	v_mul_f32_e32 v102, v18, v102                              // 000000005F74: 0ACCCD12
	v_mul_f32_e32 v103, v18, v103                              // 000000005F78: 0ACECF12
	v_mul_f32_e32 v104, v18, v104                              // 000000005F7C: 0AD0D112
	v_mul_f32_e32 v105, v18, v105                              // 000000005F80: 0AD2D312
	v_mul_f32_e32 v106, v18, v106                              // 000000005F84: 0AD4D512
	v_mul_f32_e32 v107, v18, v107                              // 000000005F88: 0AD6D712
	v_mul_f32_e32 v108, v18, v108                              // 000000005F8C: 0AD8D912
	v_mul_f32_e32 v109, v18, v109                              // 000000005F90: 0ADADB12
	v_mul_f32_e32 v110, v18, v110                              // 000000005F94: 0ADCDD12
	v_mul_f32_e32 v111, v18, v111                              // 000000005F98: 0ADEDF12
	v_mul_f32_e32 v112, v18, v112                              // 000000005F9C: 0AE0E112
	v_mul_f32_e32 v113, v18, v113                              // 000000005FA0: 0AE2E312
	v_mul_f32_e32 v114, v18, v114                              // 000000005FA4: 0AE4E512
	v_mul_f32_e32 v115, v18, v115                              // 000000005FA8: 0AE6E712
	v_mul_f32_e32 v116, v18, v116                              // 000000005FAC: 0AE8E912
	v_mul_f32_e32 v117, v18, v117                              // 000000005FB0: 0AEAEB12
	v_mul_f32_e32 v118, v18, v118                              // 000000005FB4: 0AECED12
	v_mul_f32_e32 v119, v18, v119                              // 000000005FB8: 0AEEEF12
	v_mul_f32_e32 v120, v18, v120                              // 000000005FBC: 0AF0F112
	v_mul_f32_e32 v121, v18, v121                              // 000000005FC0: 0AF2F312
	v_mul_f32_e32 v122, v18, v122                              // 000000005FC4: 0AF4F512
	v_mul_f32_e32 v123, v18, v123                              // 000000005FC8: 0AF6F712
	v_mul_f32_e32 v124, v18, v124                              // 000000005FCC: 0AF8F912
	v_mul_f32_e32 v125, v18, v125                              // 000000005FD0: 0AFAFB12
	v_mul_f32_e32 v126, v18, v126                              // 000000005FD4: 0AFCFD12
	v_mul_f32_e32 v127, v18, v127                              // 000000005FD8: 0AFEFF12
	s_waitcnt vmcnt(25)                                        // 000000005FDC: BF8C4F79
	v_mfma_f32_16x16x16_bf16 v[96:99], a[144:145], v[88:89], v[96:99]// 000000005FE0: D3E10060 0D82B190
	ds_write_b128 v20, v[160:163]                              // 000000005FE8: D9BE0000 0000A014
	v_mfma_f32_16x16x16_bf16 v[96:99], a[146:147], v[90:91], v[96:99]// 000000005FF0: D3E10060 0D82B592
	v_mfma_f32_16x16x16_bf16 v[96:99], a[148:149], v[92:93], v[96:99]// 000000005FF8: D3E10060 0D82B994
	ds_write_b128 v20, v[164:167] offset:8224                  // 000000006000: D9BE2020 0000A414
	v_mfma_f32_16x16x16_bf16 v[96:99], a[150:151], v[94:95], v[96:99]// 000000006008: D3E10060 0D82BD96
	v_mfma_f32_16x16x16_bf16 v[100:103], a[152:153], v[88:89], v[100:103]// 000000006010: D3E10064 0D92B198
	ds_write_b128 v20, v[168:171] offset:16448                 // 000000006018: D9BE4040 0000A814
	v_mfma_f32_16x16x16_bf16 v[100:103], a[154:155], v[90:91], v[100:103]// 000000006020: D3E10064 0D92B59A
	v_mfma_f32_16x16x16_bf16 v[100:103], a[156:157], v[92:93], v[100:103]// 000000006028: D3E10064 0D92B99C
	ds_write_b128 v20, v[172:175] offset:24672                 // 000000006030: D9BE6060 0000AC14
	v_mfma_f32_16x16x16_bf16 v[100:103], a[158:159], v[94:95], v[100:103]// 000000006038: D3E10064 0D92BD9E
	v_mfma_f32_16x16x16_bf16 v[104:107], a[160:161], v[88:89], v[104:107]// 000000006040: D3E10068 0DA2B1A0
	ds_write_b128 v20, v[176:179] offset:1024                  // 000000006048: D9BE0400 0000B014
	v_mfma_f32_16x16x16_bf16 v[104:107], a[162:163], v[90:91], v[104:107]// 000000006050: D3E10068 0DA2B5A2
	v_mfma_f32_16x16x16_bf16 v[104:107], a[164:165], v[92:93], v[104:107]// 000000006058: D3E10068 0DA2B9A4
	ds_write_b128 v20, v[180:183] offset:9248                  // 000000006060: D9BE2420 0000B414
	v_mfma_f32_16x16x16_bf16 v[104:107], a[166:167], v[94:95], v[104:107]// 000000006068: D3E10068 0DA2BDA6
	v_mfma_f32_16x16x16_bf16 v[108:111], a[168:169], v[88:89], v[108:111]// 000000006070: D3E1006C 0DB2B1A8
	ds_write_b128 v20, v[184:187] offset:17472                 // 000000006078: D9BE4440 0000B814
	v_mfma_f32_16x16x16_bf16 v[108:111], a[170:171], v[90:91], v[108:111]// 000000006080: D3E1006C 0DB2B5AA
	v_mfma_f32_16x16x16_bf16 v[108:111], a[172:173], v[92:93], v[108:111]// 000000006088: D3E1006C 0DB2B9AC
	ds_write_b128 v20, v[188:191] offset:25696                 // 000000006090: D9BE6460 0000BC14
	v_mfma_f32_16x16x16_bf16 v[108:111], a[174:175], v[94:95], v[108:111]// 000000006098: D3E1006C 0DB2BDAE
	v_mfma_f32_16x16x16_bf16 v[112:115], a[176:177], v[88:89], v[112:115]// 0000000060A0: D3E10070 0DC2B1B0
	ds_read_b64 a[136:137], v23 offset:32896                   // 0000000060A8: DAEC8080 88000017
	ds_read_b64 a[138:139], v23 offset:32904                   // 0000000060B0: DAEC8088 8A000017
	v_mfma_f32_16x16x16_bf16 v[112:115], a[178:179], v[90:91], v[112:115]// 0000000060B8: D3E10070 0DC2B5B2
	v_mfma_f32_16x16x16_bf16 v[112:115], a[180:181], v[92:93], v[112:115]// 0000000060C0: D3E10070 0DC2B9B4
	ds_read_b64 a[140:141], v23 offset:32960                   // 0000000060C8: DAEC80C0 8C000017
	ds_read_b64 a[142:143], v23 offset:32968                   // 0000000060D0: DAEC80C8 8E000017
	v_mfma_f32_16x16x16_bf16 v[112:115], a[182:183], v[94:95], v[112:115]// 0000000060D8: D3E10070 0DC2BDB6
	s_waitcnt lgkmcnt(8)                                       // 0000000060E0: BF8CC87F
	s_barrier                                                  // 0000000060E4: BF8A0000
	v_mfma_f32_16x16x16_bf16 v[116:119], a[184:185], v[88:89], v[116:119]// 0000000060E8: D3E10074 0DD2B1B8
	ds_read_b128 a[72:75], v22                                 // 0000000060F0: DBFE0000 48000016
	v_mfma_f32_16x16x16_bf16 v[116:119], a[186:187], v[90:91], v[116:119]// 0000000060F8: D3E10074 0DD2B5BA
	ds_read_b128 a[76:79], v22 offset:64                       // 000000006100: DBFE0040 4C000016
	v_mfma_f32_16x16x16_bf16 v[116:119], a[188:189], v[92:93], v[116:119]// 000000006108: D3E10074 0DD2B9BC
	ds_read_b128 a[80:83], v22 offset:128                      // 000000006110: DBFE0080 50000016
	v_mfma_f32_16x16x16_bf16 v[116:119], a[190:191], v[94:95], v[116:119]// 000000006118: D3E10074 0DD2BDBE
	ds_read_b128 a[84:87], v22 offset:192                      // 000000006120: DBFE00C0 54000016
	v_mfma_f32_16x16x16_bf16 v[120:123], a[192:193], v[88:89], v[120:123]// 000000006128: D3E10078 0DE2B1C0
	ds_read_b128 a[88:91], v22 offset:256                      // 000000006130: DBFE0100 58000016
	v_mfma_f32_16x16x16_bf16 v[120:123], a[194:195], v[90:91], v[120:123]// 000000006138: D3E10078 0DE2B5C2
	ds_read_b128 a[92:95], v22 offset:320                      // 000000006140: DBFE0140 5C000016
	v_mfma_f32_16x16x16_bf16 v[120:123], a[196:197], v[92:93], v[120:123]// 000000006148: D3E10078 0DE2B9C4
	ds_read_b128 a[96:99], v22 offset:384                      // 000000006150: DBFE0180 60000016
	v_mfma_f32_16x16x16_bf16 v[120:123], a[198:199], v[94:95], v[120:123]// 000000006158: D3E10078 0DE2BDC6
	ds_read_b128 a[100:103], v22 offset:448                    // 000000006160: DBFE01C0 64000016
	v_mfma_f32_16x16x16_bf16 v[124:127], a[200:201], v[88:89], v[124:127]// 000000006168: D3E1007C 0DF2B1C8
	ds_read_b128 a[104:107], v22 offset:512                    // 000000006170: DBFE0200 68000016
	v_mfma_f32_16x16x16_bf16 v[124:127], a[202:203], v[90:91], v[124:127]// 000000006178: D3E1007C 0DF2B5CA
	ds_read_b128 a[108:111], v22 offset:576                    // 000000006180: DBFE0240 6C000016
	v_mfma_f32_16x16x16_bf16 v[124:127], a[204:205], v[92:93], v[124:127]// 000000006188: D3E1007C 0DF2B9CC
	ds_read_b128 a[112:115], v22 offset:640                    // 000000006190: DBFE0280 70000016
	v_mfma_f32_16x16x16_bf16 v[124:127], a[206:207], v[94:95], v[124:127]// 000000006198: D3E1007C 0DF2BDCE
	ds_read_b128 a[116:119], v22 offset:704                    // 0000000061A0: DBFE02C0 74000016
	ds_read_b128 a[120:123], v22 offset:768                    // 0000000061A8: DBFE0300 78000016
	ds_read_b128 a[124:127], v22 offset:832                    // 0000000061B0: DBFE0340 7C000016
	ds_read_b128 a[128:131], v22 offset:896                    // 0000000061B8: DBFE0380 80000016
	ds_read_b128 a[132:135], v22 offset:960                    // 0000000061C0: DBFE03C0 84000016
	v_perm_b32 v56, v132, v128, s53                            // 0000000061C8: D1ED0038 00D70184
	v_perm_b32 v57, v132, v128, s52                            // 0000000061D0: D1ED0039 00D30184
	v_perm_b32 v58, v140, v136, s53                            // 0000000061D8: D1ED003A 00D7118C
	v_perm_b32 v59, v140, v136, s52                            // 0000000061E0: D1ED003B 00D3118C
	v_perm_b32 v60, v148, v144, s53                            // 0000000061E8: D1ED003C 00D72194
	v_perm_b32 v61, v148, v144, s52                            // 0000000061F0: D1ED003D 00D32194
	v_perm_b32 v62, v156, v152, s53                            // 0000000061F8: D1ED003E 00D7319C
	v_perm_b32 v63, v156, v152, s52                            // 000000006200: D1ED003F 00D3319C
	v_accvgpr_write_b32 a144, v56                              // 000000006208: D3D94090 18000138
	v_accvgpr_write_b32 a152, v57                              // 000000006210: D3D94098 18000139
	v_accvgpr_write_b32 a145, v58                              // 000000006218: D3D94091 1800013A
	v_accvgpr_write_b32 a153, v59                              // 000000006220: D3D94099 1800013B
	v_accvgpr_write_b32 a146, v60                              // 000000006228: D3D94092 1800013C
	v_accvgpr_write_b32 a154, v61                              // 000000006230: D3D9409A 1800013D
	v_accvgpr_write_b32 a147, v62                              // 000000006238: D3D94093 1800013E
	v_accvgpr_write_b32 a155, v63                              // 000000006240: D3D9409B 1800013F
	v_perm_b32 v56, v164, v160, s53                            // 000000006248: D1ED0038 00D741A4
	v_perm_b32 v57, v164, v160, s52                            // 000000006250: D1ED0039 00D341A4
	v_perm_b32 v58, v172, v168, s53                            // 000000006258: D1ED003A 00D751AC
	v_perm_b32 v59, v172, v168, s52                            // 000000006260: D1ED003B 00D351AC
	v_perm_b32 v60, v180, v176, s53                            // 000000006268: D1ED003C 00D761B4
	v_perm_b32 v61, v180, v176, s52                            // 000000006270: D1ED003D 00D361B4
	v_perm_b32 v62, v188, v184, s53                            // 000000006278: D1ED003E 00D771BC
	v_perm_b32 v63, v188, v184, s52                            // 000000006280: D1ED003F 00D371BC
	v_accvgpr_write_b32 a148, v56                              // 000000006288: D3D94094 18000138
	v_accvgpr_write_b32 a156, v57                              // 000000006290: D3D9409C 18000139
	v_accvgpr_write_b32 a149, v58                              // 000000006298: D3D94095 1800013A
	v_accvgpr_write_b32 a157, v59                              // 0000000062A0: D3D9409D 1800013B
	v_accvgpr_write_b32 a150, v60                              // 0000000062A8: D3D94096 1800013C
	v_accvgpr_write_b32 a158, v61                              // 0000000062B0: D3D9409E 1800013D
	v_accvgpr_write_b32 a151, v62                              // 0000000062B8: D3D94097 1800013E
	v_accvgpr_write_b32 a159, v63                              // 0000000062C0: D3D9409F 1800013F
	v_perm_b32 v56, v133, v129, s53                            // 0000000062C8: D1ED0038 00D70385
	v_perm_b32 v57, v133, v129, s52                            // 0000000062D0: D1ED0039 00D30385
	v_perm_b32 v58, v141, v137, s53                            // 0000000062D8: D1ED003A 00D7138D
	v_perm_b32 v59, v141, v137, s52                            // 0000000062E0: D1ED003B 00D3138D
	v_perm_b32 v60, v149, v145, s53                            // 0000000062E8: D1ED003C 00D72395
	v_perm_b32 v61, v149, v145, s52                            // 0000000062F0: D1ED003D 00D32395
	v_perm_b32 v62, v157, v153, s53                            // 0000000062F8: D1ED003E 00D7339D
	v_perm_b32 v63, v157, v153, s52                            // 000000006300: D1ED003F 00D3339D
	v_accvgpr_write_b32 a160, v56                              // 000000006308: D3D940A0 18000138
	v_accvgpr_write_b32 a168, v57                              // 000000006310: D3D940A8 18000139
	v_accvgpr_write_b32 a161, v58                              // 000000006318: D3D940A1 1800013A
	v_accvgpr_write_b32 a169, v59                              // 000000006320: D3D940A9 1800013B
	v_accvgpr_write_b32 a162, v60                              // 000000006328: D3D940A2 1800013C
	v_accvgpr_write_b32 a170, v61                              // 000000006330: D3D940AA 1800013D
	v_accvgpr_write_b32 a163, v62                              // 000000006338: D3D940A3 1800013E
	v_accvgpr_write_b32 a171, v63                              // 000000006340: D3D940AB 1800013F
	v_perm_b32 v56, v165, v161, s53                            // 000000006348: D1ED0038 00D743A5
	v_perm_b32 v57, v165, v161, s52                            // 000000006350: D1ED0039 00D343A5
	v_perm_b32 v58, v173, v169, s53                            // 000000006358: D1ED003A 00D753AD
	v_perm_b32 v59, v173, v169, s52                            // 000000006360: D1ED003B 00D353AD
	v_perm_b32 v60, v181, v177, s53                            // 000000006368: D1ED003C 00D763B5
	v_perm_b32 v61, v181, v177, s52                            // 000000006370: D1ED003D 00D363B5
	v_perm_b32 v62, v189, v185, s53                            // 000000006378: D1ED003E 00D773BD
	v_perm_b32 v63, v189, v185, s52                            // 000000006380: D1ED003F 00D373BD
	v_accvgpr_write_b32 a164, v56                              // 000000006388: D3D940A4 18000138
	v_accvgpr_write_b32 a172, v57                              // 000000006390: D3D940AC 18000139
	v_accvgpr_write_b32 a165, v58                              // 000000006398: D3D940A5 1800013A
	v_accvgpr_write_b32 a173, v59                              // 0000000063A0: D3D940AD 1800013B
	v_accvgpr_write_b32 a166, v60                              // 0000000063A8: D3D940A6 1800013C
	v_accvgpr_write_b32 a174, v61                              // 0000000063B0: D3D940AE 1800013D
	v_accvgpr_write_b32 a167, v62                              // 0000000063B8: D3D940A7 1800013E
	v_accvgpr_write_b32 a175, v63                              // 0000000063C0: D3D940AF 1800013F
	v_perm_b32 v56, v134, v130, s53                            // 0000000063C8: D1ED0038 00D70586
	v_perm_b32 v57, v134, v130, s52                            // 0000000063D0: D1ED0039 00D30586
	v_perm_b32 v58, v142, v138, s53                            // 0000000063D8: D1ED003A 00D7158E
	v_perm_b32 v59, v142, v138, s52                            // 0000000063E0: D1ED003B 00D3158E
	v_perm_b32 v60, v150, v146, s53                            // 0000000063E8: D1ED003C 00D72596
	v_perm_b32 v61, v150, v146, s52                            // 0000000063F0: D1ED003D 00D32596
	v_perm_b32 v62, v158, v154, s53                            // 0000000063F8: D1ED003E 00D7359E
	v_perm_b32 v63, v158, v154, s52                            // 000000006400: D1ED003F 00D3359E
	v_accvgpr_write_b32 a176, v56                              // 000000006408: D3D940B0 18000138
	v_accvgpr_write_b32 a184, v57                              // 000000006410: D3D940B8 18000139
	v_accvgpr_write_b32 a177, v58                              // 000000006418: D3D940B1 1800013A
	v_accvgpr_write_b32 a185, v59                              // 000000006420: D3D940B9 1800013B
	v_accvgpr_write_b32 a178, v60                              // 000000006428: D3D940B2 1800013C
	v_accvgpr_write_b32 a186, v61                              // 000000006430: D3D940BA 1800013D
	v_accvgpr_write_b32 a179, v62                              // 000000006438: D3D940B3 1800013E
	v_accvgpr_write_b32 a187, v63                              // 000000006440: D3D940BB 1800013F
	v_perm_b32 v56, v166, v162, s53                            // 000000006448: D1ED0038 00D745A6
	v_perm_b32 v57, v166, v162, s52                            // 000000006450: D1ED0039 00D345A6
	v_perm_b32 v58, v174, v170, s53                            // 000000006458: D1ED003A 00D755AE
	v_perm_b32 v59, v174, v170, s52                            // 000000006460: D1ED003B 00D355AE
	v_perm_b32 v60, v182, v178, s53                            // 000000006468: D1ED003C 00D765B6
	v_perm_b32 v61, v182, v178, s52                            // 000000006470: D1ED003D 00D365B6
	v_perm_b32 v62, v190, v186, s53                            // 000000006478: D1ED003E 00D775BE
	v_perm_b32 v63, v190, v186, s52                            // 000000006480: D1ED003F 00D375BE
	v_accvgpr_write_b32 a180, v56                              // 000000006488: D3D940B4 18000138
	v_accvgpr_write_b32 a188, v57                              // 000000006490: D3D940BC 18000139
	v_accvgpr_write_b32 a181, v58                              // 000000006498: D3D940B5 1800013A
	v_accvgpr_write_b32 a189, v59                              // 0000000064A0: D3D940BD 1800013B
	v_accvgpr_write_b32 a182, v60                              // 0000000064A8: D3D940B6 1800013C
	v_accvgpr_write_b32 a190, v61                              // 0000000064B0: D3D940BE 1800013D
	v_accvgpr_write_b32 a183, v62                              // 0000000064B8: D3D940B7 1800013E
	v_accvgpr_write_b32 a191, v63                              // 0000000064C0: D3D940BF 1800013F
	v_perm_b32 v56, v135, v131, s53                            // 0000000064C8: D1ED0038 00D70787
	v_perm_b32 v57, v135, v131, s52                            // 0000000064D0: D1ED0039 00D30787
	v_perm_b32 v58, v143, v139, s53                            // 0000000064D8: D1ED003A 00D7178F
	v_perm_b32 v59, v143, v139, s52                            // 0000000064E0: D1ED003B 00D3178F
	v_perm_b32 v60, v151, v147, s53                            // 0000000064E8: D1ED003C 00D72797
	v_perm_b32 v61, v151, v147, s52                            // 0000000064F0: D1ED003D 00D32797
	v_perm_b32 v62, v159, v155, s53                            // 0000000064F8: D1ED003E 00D7379F
	v_perm_b32 v63, v159, v155, s52                            // 000000006500: D1ED003F 00D3379F
	v_accvgpr_write_b32 a192, v56                              // 000000006508: D3D940C0 18000138
	v_accvgpr_write_b32 a200, v57                              // 000000006510: D3D940C8 18000139
	v_accvgpr_write_b32 a193, v58                              // 000000006518: D3D940C1 1800013A
	v_accvgpr_write_b32 a201, v59                              // 000000006520: D3D940C9 1800013B
	v_accvgpr_write_b32 a194, v60                              // 000000006528: D3D940C2 1800013C
	v_accvgpr_write_b32 a202, v61                              // 000000006530: D3D940CA 1800013D
	v_accvgpr_write_b32 a195, v62                              // 000000006538: D3D940C3 1800013E
	v_accvgpr_write_b32 a203, v63                              // 000000006540: D3D940CB 1800013F
	v_perm_b32 v56, v167, v163, s53                            // 000000006548: D1ED0038 00D747A7
	v_perm_b32 v57, v167, v163, s52                            // 000000006550: D1ED0039 00D347A7
	v_perm_b32 v58, v175, v171, s53                            // 000000006558: D1ED003A 00D757AF
	v_perm_b32 v59, v175, v171, s52                            // 000000006560: D1ED003B 00D357AF
	v_perm_b32 v60, v183, v179, s53                            // 000000006568: D1ED003C 00D767B7
	v_perm_b32 v61, v183, v179, s52                            // 000000006570: D1ED003D 00D367B7
	v_perm_b32 v62, v191, v187, s53                            // 000000006578: D1ED003E 00D777BF
	v_perm_b32 v63, v191, v187, s52                            // 000000006580: D1ED003F 00D377BF
	v_accvgpr_write_b32 a196, v56                              // 000000006588: D3D940C4 18000138
	v_accvgpr_write_b32 a204, v57                              // 000000006590: D3D940CC 18000139
	v_accvgpr_write_b32 a197, v58                              // 000000006598: D3D940C5 1800013A
	v_accvgpr_write_b32 a205, v59                              // 0000000065A0: D3D940CD 1800013B
	v_accvgpr_write_b32 a198, v60                              // 0000000065A8: D3D940C6 1800013C
	v_accvgpr_write_b32 a206, v61                              // 0000000065B0: D3D940CE 1800013D
	v_accvgpr_write_b32 a199, v62                              // 0000000065B8: D3D940C7 1800013E
	v_accvgpr_write_b32 a207, v63                              // 0000000065C0: D3D940CF 1800013F
	s_addk_i32 s70, 0x1                                        // 0000000065C8: B7460001
	s_cmp_lt_i32 s70, s71                                      // 0000000065CC: BF044746
	s_cbranch_scc0 label_0ABE                                  // 0000000065D0: BF84F9C9
	s_branch label_0AC1                                        // 0000000065D4: BF82F9CB

00000000000065d8 <label_10F6>:
	s_cmp_eq_i32 s48, 0                                        // 0000000065D8: BF008030
	s_cbranch_scc1 label_1477                                  // 0000000065DC: BF85035D

00000000000065e0 <label_10F8>:
	s_and_b32 s56, s71, 1                                      // 0000000065E0: 86388147
	s_cmp_eq_i32 s56, 1                                        // 0000000065E4: BF008138
	s_cbranch_scc1 label_12A8                                  // 0000000065E8: BF8501AD
	s_waitcnt vmcnt(0) expcnt(0) lgkmcnt(0)                    // 0000000065EC: BF8C0000
	s_barrier                                                  // 0000000065F0: BF8A0000
	v_mfma_f32_16x16x16_bf16 v[88:91], a[72:73], a[0:1], 0     // 0000000065F4: D3E10058 1A020148
	v_mfma_f32_16x16x16_bf16 v[88:91], a[74:75], a[2:3], v[88:91]// 0000000065FC: D3E10058 1D62054A
	v_mfma_f32_16x16x16_bf16 v[88:91], a[76:77], a[4:5], v[88:91]// 000000006604: D3E10058 1D62094C
	v_mfma_f32_16x16x16_bf16 v[88:91], a[78:79], a[6:7], v[88:91]// 00000000660C: D3E10058 1D620D4E
	v_mfma_f32_16x16x16_bf16 v[88:91], a[80:81], a[8:9], v[88:91]// 000000006614: D3E10058 1D621150
	v_mfma_f32_16x16x16_bf16 v[88:91], a[82:83], a[10:11], v[88:91]// 00000000661C: D3E10058 1D621552
	v_mfma_f32_16x16x16_bf16 v[88:91], a[84:85], a[12:13], v[88:91]// 000000006624: D3E10058 1D621954
	v_mfma_f32_16x16x16_bf16 v[88:91], a[86:87], a[14:15], v[88:91]// 00000000662C: D3E10058 1D621D56
	v_mfma_f32_16x16x16_bf16 v[88:91], a[88:89], a[16:17], v[88:91]// 000000006634: D3E10058 1D622158
	v_mfma_f32_16x16x16_bf16 v[88:91], a[90:91], a[18:19], v[88:91]// 00000000663C: D3E10058 1D62255A
	v_mfma_f32_16x16x16_bf16 v[88:91], a[92:93], a[20:21], v[88:91]// 000000006644: D3E10058 1D62295C
	v_mfma_f32_16x16x16_bf16 v[88:91], a[94:95], a[22:23], v[88:91]// 00000000664C: D3E10058 1D622D5E
	v_mfma_f32_16x16x16_bf16 v[88:91], a[96:97], a[24:25], v[88:91]// 000000006654: D3E10058 1D623160
	v_mfma_f32_16x16x16_bf16 v[88:91], a[98:99], a[26:27], v[88:91]// 00000000665C: D3E10058 1D623562
	v_mfma_f32_16x16x16_bf16 v[88:91], a[100:101], a[28:29], v[88:91]// 000000006664: D3E10058 1D623964
	v_mfma_f32_16x16x16_bf16 v[88:91], a[102:103], a[30:31], v[88:91]// 00000000666C: D3E10058 1D623D66
	v_mfma_f32_16x16x16_bf16 v[88:91], a[104:105], a[32:33], v[88:91]// 000000006674: D3E10058 1D624168
	v_mfma_f32_16x16x16_bf16 v[88:91], a[106:107], a[34:35], v[88:91]// 00000000667C: D3E10058 1D62456A
	v_mfma_f32_16x16x16_bf16 v[88:91], a[108:109], a[36:37], v[88:91]// 000000006684: D3E10058 1D62496C
	v_mfma_f32_16x16x16_bf16 v[88:91], a[110:111], a[38:39], v[88:91]// 00000000668C: D3E10058 1D624D6E
	v_mfma_f32_16x16x16_bf16 v[88:91], a[112:113], a[40:41], v[88:91]// 000000006694: D3E10058 1D625170
	v_mfma_f32_16x16x16_bf16 v[88:91], a[114:115], a[42:43], v[88:91]// 00000000669C: D3E10058 1D625572
	v_mfma_f32_16x16x16_bf16 v[88:91], a[116:117], a[44:45], v[88:91]// 0000000066A4: D3E10058 1D625974
	v_mfma_f32_16x16x16_bf16 v[88:91], a[118:119], a[46:47], v[88:91]// 0000000066AC: D3E10058 1D625D76
	v_mfma_f32_16x16x16_bf16 v[88:91], a[120:121], a[48:49], v[88:91]// 0000000066B4: D3E10058 1D626178
	v_mfma_f32_16x16x16_bf16 v[88:91], a[122:123], a[50:51], v[88:91]// 0000000066BC: D3E10058 1D62657A
	v_mfma_f32_16x16x16_bf16 v[88:91], a[124:125], a[52:53], v[88:91]// 0000000066C4: D3E10058 1D62697C
	v_mfma_f32_16x16x16_bf16 v[88:91], a[126:127], a[54:55], v[88:91]// 0000000066CC: D3E10058 1D626D7E
	v_mfma_f32_16x16x16_bf16 v[88:91], a[128:129], a[56:57], v[88:91]// 0000000066D4: D3E10058 1D627180
	v_mfma_f32_16x16x16_bf16 v[88:91], a[130:131], a[58:59], v[88:91]// 0000000066DC: D3E10058 1D627582
	v_mfma_f32_16x16x16_bf16 v[88:91], a[132:133], a[60:61], v[88:91]// 0000000066E4: D3E10058 1D627984
	v_mfma_f32_16x16x16_bf16 v[88:91], a[134:135], a[62:63], v[88:91]// 0000000066EC: D3E10058 1D627D86
	v_mfma_f32_16x16x16_bf16 v[88:91], a[136:137], a[64:65], v[88:91]// 0000000066F4: D3E10058 1D628188
	v_mfma_f32_16x16x16_bf16 v[88:91], a[138:139], a[66:67], v[88:91]// 0000000066FC: D3E10058 1D62858A
	v_mfma_f32_16x16x16_bf16 v[88:91], a[140:141], a[68:69], v[88:91]// 000000006704: D3E10058 1D62898C
	v_mfma_f32_16x16x16_bf16 v[88:91], a[142:143], a[70:71], v[88:91]// 00000000670C: D3E10058 1D628D8E
	s_nop 8                                                    // 000000006714: BF800008
	s_cmp_le_i32 s83, s82                                      // 000000006718: BF055253
	s_cbranch_scc1 label_116A                                  // 00000000671C: BF850022
	v_mov_b32_e32 v11, 0xff800000                              // 000000006720: 7E1602FF FF800000
	v_lshrrev_b32_e32 v32, 3, v0                               // 000000006728: 20400083
	v_and_b32_e32 v32, 1, v32                                  // 00000000672C: 26404081
	v_add_u32_e32 v32, s82, v32                                // 000000006730: 68404052
	s_mul_i32 s57, s7, 16                                      // 000000006734: 92399007
	s_sub_u32 s56, s83, 63                                     // 000000006738: 80B8BF53
	v_lshrrev_b32_e32 v44, 4, v0                               // 00000000673C: 20580084
	v_mul_i32_i24_e32 v44, 4, v44                              // 000000006740: 0C585884
	v_add_u32_e32 v44, s56, v44                                // 000000006744: 68585838
	v_add_u32_e32 v44, s57, v44                                // 000000006748: 68585839
	v_add_u32_e32 v45, 1, v44                                  // 00000000674C: 685A5881
	v_add_u32_e32 v46, 2, v44                                  // 000000006750: 685C5882
	v_add_u32_e32 v47, 3, v44                                  // 000000006754: 685E5883
	v_cmp_le_u32_e64 s[34:35], v44, v32                        // 000000006758: D0CB0022 0002412C
	s_nop 0                                                    // 000000006760: BF800000
	v_cndmask_b32_e64 v88, v11, v88, s[34:35]                  // 000000006764: D1000058 008AB10B
	v_cmp_le_u32_e64 s[34:35], v45, v32                        // 00000000676C: D0CB0022 0002412D
	s_nop 0                                                    // 000000006774: BF800000
	v_cndmask_b32_e64 v89, v11, v89, s[34:35]                  // 000000006778: D1000059 008AB30B
	v_cmp_le_u32_e64 s[34:35], v46, v32                        // 000000006780: D0CB0022 0002412E
	s_nop 0                                                    // 000000006788: BF800000
	v_cndmask_b32_e64 v90, v11, v90, s[34:35]                  // 00000000678C: D100005A 008AB50B
	v_cmp_le_u32_e64 s[34:35], v47, v32                        // 000000006794: D0CB0022 0002412F
	s_nop 0                                                    // 00000000679C: BF800000
	v_cndmask_b32_e64 v91, v11, v91, s[34:35]                  // 0000000067A0: D100005B 008AB70B

00000000000067a8 <label_116A>:
	s_and_b32 s56, s48, 0xff                                   // 0000000067A8: 8638FF30 000000FF
	v_mov_b32_e32 v43, s56                                     // 0000000067B0: 7E560238
	v_lshrrev_b32_e32 v44, 4, v0                               // 0000000067B4: 20580084
	v_mul_i32_i24_e32 v44, 4, v44                              // 0000000067B8: 0C585884
	s_mul_i32 s56, s7, 16                                      // 0000000067BC: 92389007
	v_add_u32_e32 v44, s56, v44                                // 0000000067C0: 68585838
	v_add_u32_e32 v45, 1, v44                                  // 0000000067C4: 685A5881
	v_add_u32_e32 v46, 2, v44                                  // 0000000067C8: 685C5882
	v_add_u32_e32 v47, 3, v44                                  // 0000000067CC: 685E5883
	v_cmp_lt_u32_e64 s[34:35], v44, v43                        // 0000000067D0: D0C90022 0002572C
	v_add_u32_e32 v44, 64, v44                                 // 0000000067D8: 685858C0
	s_nop 0                                                    // 0000000067DC: BF800000
	v_cndmask_b32_e64 v88, v11, v88, s[34:35]                  // 0000000067E0: D1000058 008AB10B
	v_cmp_lt_u32_e64 s[34:35], v45, v43                        // 0000000067E8: D0C90022 0002572D
	v_add_u32_e32 v45, 64, v45                                 // 0000000067F0: 685A5AC0
	s_nop 0                                                    // 0000000067F4: BF800000
	v_cndmask_b32_e64 v89, v11, v89, s[34:35]                  // 0000000067F8: D1000059 008AB30B
	v_cmp_lt_u32_e64 s[34:35], v46, v43                        // 000000006800: D0C90022 0002572E
	v_add_u32_e32 v46, 64, v46                                 // 000000006808: 685C5CC0
	s_nop 0                                                    // 00000000680C: BF800000
	v_cndmask_b32_e64 v90, v11, v90, s[34:35]                  // 000000006810: D100005A 008AB50B
	v_cmp_lt_u32_e64 s[34:35], v47, v43                        // 000000006818: D0C90022 0002572F
	v_add_u32_e32 v47, 64, v47                                 // 000000006820: 685E5EC0
	s_nop 0                                                    // 000000006824: BF800000
	v_cndmask_b32_e64 v91, v11, v91, s[34:35]                  // 000000006828: D100005B 008AB70B
	s_nop 8                                                    // 000000006830: BF800008
	v_mov_b32_e32 v8, v88                                      // 000000006834: 7E100358
	v_max3_f32 v8, v88, v89, v8                                // 000000006838: D1D30008 0422B358
	v_max3_f32 v8, v90, v91, v8                                // 000000006840: D1D30008 0422B75A
	ds_write_b32 v5, v8 offset:41600                           // 000000006848: D81AA280 00000805
	s_waitcnt lgkmcnt(0)                                       // 000000006850: BF8CC07F
	s_barrier                                                  // 000000006854: BF8A0000
	ds_read_b32 v56, v4 offset:41600                           // 000000006858: D86CA280 38000004
	ds_read_b32 v57, v4 offset:41664                           // 000000006860: D86CA2C0 39000004
	ds_read_b32 v58, v4 offset:41728                           // 000000006868: D86CA300 3A000004
	ds_read_b32 v59, v4 offset:41792                           // 000000006870: D86CA340 3B000004
	ds_read_b32 v60, v4 offset:41856                           // 000000006878: D86CA380 3C000004
	ds_read_b32 v61, v4 offset:41920                           // 000000006880: D86CA3C0 3D000004
	ds_read_b32 v62, v4 offset:41984                           // 000000006888: D86CA400 3E000004
	ds_read_b32 v63, v4 offset:42048                           // 000000006890: D86CA440 3F000004
	ds_read_b32 v64, v4 offset:42112                           // 000000006898: D86CA480 40000004
	ds_read_b32 v65, v4 offset:42176                           // 0000000068A0: D86CA4C0 41000004
	ds_read_b32 v66, v4 offset:42240                           // 0000000068A8: D86CA500 42000004
	ds_read_b32 v67, v4 offset:42304                           // 0000000068B0: D86CA540 43000004
	ds_read_b32 v68, v4 offset:42368                           // 0000000068B8: D86CA580 44000004
	ds_read_b32 v69, v4 offset:42432                           // 0000000068C0: D86CA5C0 45000004
	ds_read_b32 v70, v4 offset:42496                           // 0000000068C8: D86CA600 46000004
	ds_read_b32 v71, v4 offset:42560                           // 0000000068D0: D86CA640 47000004
	s_waitcnt lgkmcnt(0)                                       // 0000000068D8: BF8CC07F
	v_max3_f32 v8, v56, v57, v8                                // 0000000068DC: D1D30008 04227338
	v_max3_f32 v8, v58, v59, v8                                // 0000000068E4: D1D30008 0422773A
	v_max3_f32 v8, v60, v61, v8                                // 0000000068EC: D1D30008 04227B3C
	v_max3_f32 v8, v62, v63, v8                                // 0000000068F4: D1D30008 04227F3E
	v_max3_f32 v8, v64, v65, v8                                // 0000000068FC: D1D30008 04228340
	v_max3_f32 v8, v66, v67, v8                                // 000000006904: D1D30008 04228742
	v_max3_f32 v8, v68, v69, v8                                // 00000000690C: D1D30008 04228B44
	v_max3_f32 v8, v70, v71, v8                                // 000000006914: D1D30008 04228F46
	v_cmp_eq_u32_e64 s[34:35], v11, v12                        // 00000000691C: D0CA0022 0002190B
	v_max_f32_e32 v13, v8, v12                                 // 000000006924: 161A1908
	v_sub_f32_e32 v18, v12, v13                                // 000000006928: 04241B0C
	v_cndmask_b32_e64 v18, v18, 0, s[34:35]                    // 00000000692C: D1000012 00890112
	v_mov_b32_e32 v12, v13                                     // 000000006934: 7E18030D
	v_mul_f32_e32 v9, s5, v13                                  // 000000006938: 0A121A05
	v_mul_f32_e32 v18, s5, v18                                 // 00000000693C: 0A242405
	v_exp_f32_e32 v18, v18                                     // 000000006940: 7E244112
	v_fma_f32 v88, v88, s5, -v9                                // 000000006944: D1CB0058 84240B58
	v_fma_f32 v89, v89, s5, -v9                                // 00000000694C: D1CB0059 84240B59
	v_fma_f32 v90, v90, s5, -v9                                // 000000006954: D1CB005A 84240B5A
	v_fma_f32 v91, v91, s5, -v9                                // 00000000695C: D1CB005B 84240B5B
	v_exp_f32_e32 v88, v88                                     // 000000006964: 7EB04158
	v_exp_f32_e32 v89, v89                                     // 000000006968: 7EB24159
	v_exp_f32_e32 v90, v90                                     // 00000000696C: 7EB4415A
	v_exp_f32_e32 v91, v91                                     // 000000006970: 7EB6415B
	v_mul_f32_e32 v14, v18, v14                                // 000000006974: 0A1C1D12
	v_mov_b32_e32 v15, v88                                     // 000000006978: 7E1E0358
	v_add_f32_e32 v15, v89, v15                                // 00000000697C: 021E1F59
	v_add_f32_e32 v15, v90, v15                                // 000000006980: 021E1F5A
	v_add_f32_e32 v15, v91, v15                                // 000000006984: 021E1F5B
	v_add_f32_e32 v14, v15, v14                                // 000000006988: 021C1D0F
	v_cmp_u_f32_e64 s[34:35], v88, v88                         // 00000000698C: D0480022 0002B158
	v_add3_u32 v28, v88, v31, 1                                // 000000006994: D1FF001C 02063F58
	v_cndmask_b32_e64 v32, v28, v30, s[34:35]                  // 00000000699C: D1000020 008A3D1C
	v_cmp_u_f32_e64 s[34:35], v89, v89                         // 0000000069A4: D0480022 0002B359
	v_add3_u32 v28, v89, v31, 1                                // 0000000069AC: D1FF001C 02063F59
	v_cndmask_b32_e64 v33, v28, v30, s[34:35]                  // 0000000069B4: D1000021 008A3D1C
	v_perm_b32 v88, v33, v32, s52                              // 0000000069BC: D1ED0058 00D24121
	v_cmp_u_f32_e64 s[34:35], v90, v90                         // 0000000069C4: D0480022 0002B55A
	v_add3_u32 v28, v90, v31, 1                                // 0000000069CC: D1FF001C 02063F5A
	v_cndmask_b32_e64 v32, v28, v30, s[34:35]                  // 0000000069D4: D1000020 008A3D1C
	v_cmp_u_f32_e64 s[34:35], v91, v91                         // 0000000069DC: D0480022 0002B75B
	v_add3_u32 v28, v91, v31, 1                                // 0000000069E4: D1FF001C 02063F5B
	v_cndmask_b32_e64 v33, v28, v30, s[34:35]                  // 0000000069EC: D1000021 008A3D1C
	v_perm_b32 v89, v33, v32, s52                              // 0000000069F4: D1ED0059 00D24121
	ds_write_b64 v7, v[88:89] offset:42624                     // 0000000069FC: D89AA680 00005807
	s_waitcnt lgkmcnt(0)                                       // 000000006A04: BF8CC07F
	s_barrier                                                  // 000000006A08: BF8A0000
	ds_read_b64 v[88:89], v6 offset:42624                      // 000000006A0C: D8ECA680 58000006
	ds_read_b64 v[90:91], v6 offset:42752                      // 000000006A14: D8ECA700 5A000006
	ds_read_b64 v[92:93], v6 offset:43648                      // 000000006A1C: D8ECAA80 5C000006
	ds_read_b64 v[94:95], v6 offset:43776                      // 000000006A24: D8ECAB00 5E000006
	v_mul_u32_u24_dpp v40, v25, v10 row_newbcast:0 row_mask:0xf bank_mask:0xf// 000000006A2C: 105014FA FF015019
	v_mul_u32_u24_dpp v41, v25, v10 row_newbcast:1 row_mask:0xf bank_mask:0xf// 000000006A34: 105214FA FF015119
	v_mul_u32_u24_dpp v42, v25, v10 row_newbcast:2 row_mask:0xf bank_mask:0xf// 000000006A3C: 105414FA FF015219
	v_mul_u32_u24_dpp v43, v25, v10 row_newbcast:3 row_mask:0xf bank_mask:0xf// 000000006A44: 105614FA FF015319
	v_mul_u32_u24_dpp v44, v25, v10 row_newbcast:4 row_mask:0xf bank_mask:0xf// 000000006A4C: 105814FA FF015419
	v_mul_u32_u24_dpp v45, v25, v10 row_newbcast:5 row_mask:0xf bank_mask:0xf// 000000006A54: 105A14FA FF015519
	v_mul_u32_u24_dpp v46, v25, v10 row_newbcast:6 row_mask:0xf bank_mask:0xf// 000000006A5C: 105C14FA FF015619
	v_mul_u32_u24_dpp v47, v25, v10 row_newbcast:7 row_mask:0xf bank_mask:0xf// 000000006A64: 105E14FA FF015719
	v_mul_u32_u24_dpp v48, v25, v10 row_newbcast:8 row_mask:0xf bank_mask:0xf// 000000006A6C: 106014FA FF015819
	v_mul_u32_u24_dpp v49, v25, v10 row_newbcast:9 row_mask:0xf bank_mask:0xf// 000000006A74: 106214FA FF015919
	v_mul_u32_u24_dpp v50, v25, v10 row_newbcast:10 row_mask:0xf bank_mask:0xf// 000000006A7C: 106414FA FF015A19
	v_mul_u32_u24_dpp v51, v25, v10 row_newbcast:11 row_mask:0xf bank_mask:0xf// 000000006A84: 106614FA FF015B19
	v_mul_u32_u24_dpp v52, v25, v10 row_newbcast:12 row_mask:0xf bank_mask:0xf// 000000006A8C: 106814FA FF015C19
	v_mul_u32_u24_dpp v53, v25, v10 row_newbcast:13 row_mask:0xf bank_mask:0xf// 000000006A94: 106A14FA FF015D19
	v_mul_u32_u24_dpp v54, v25, v10 row_newbcast:14 row_mask:0xf bank_mask:0xf// 000000006A9C: 106C14FA FF015E19
	v_mul_u32_u24_dpp v55, v25, v10 row_newbcast:15 row_mask:0xf bank_mask:0xf// 000000006AA4: 106E14FA FF015F19
	s_mov_b32 s56, m0                                          // 000000006AAC: BEB8007C
	s_set_gpr_idx_on s51, gpr_idx(SRC0)                        // 000000006AB0: BF110133
	v_add_u32_e32 v36, v40, v3                                 // 000000006AB4: 68480728
	v_add_u32_e32 v37, v41, v3                                 // 000000006AB8: 684A0729
	v_add_u32_e32 v38, v42, v3                                 // 000000006ABC: 684C072A
	v_add_u32_e32 v39, v43, v3                                 // 000000006AC0: 684E072B
	s_set_gpr_idx_off                                          // 000000006AC4: BF9C0000
	s_mov_b32 m0, s56                                          // 000000006AC8: BEFC0038
	v_add_u32_e32 v40, v40, v2                                 // 000000006ACC: 68500528
	v_add_u32_e32 v41, v41, v2                                 // 000000006AD0: 68520529
	v_add_u32_e32 v42, v42, v2                                 // 000000006AD4: 6854052A
	v_add_u32_e32 v43, v43, v2                                 // 000000006AD8: 6856052B
	v_add_u32_e32 v44, v44, v2                                 // 000000006ADC: 6858052C
	v_add_u32_e32 v45, v45, v2                                 // 000000006AE0: 685A052D
	v_add_u32_e32 v46, v46, v2                                 // 000000006AE4: 685C052E
	v_add_u32_e32 v47, v47, v2                                 // 000000006AE8: 685E052F
	v_add_u32_e32 v48, v48, v2                                 // 000000006AEC: 68600530
	v_add_u32_e32 v49, v49, v2                                 // 000000006AF0: 68620531
	v_add_u32_e32 v50, v50, v2                                 // 000000006AF4: 68640532
	v_add_u32_e32 v51, v51, v2                                 // 000000006AF8: 68660533
	v_add_u32_e32 v52, v52, v2                                 // 000000006AFC: 68680534
	v_add_u32_e32 v53, v53, v2                                 // 000000006B00: 686A0535
	v_add_u32_e32 v54, v54, v2                                 // 000000006B04: 686C0536
	v_add_u32_e32 v55, v55, v2                                 // 000000006B08: 686E0537
	s_waitcnt lgkmcnt(0)                                       // 000000006B0C: BF8CC07F
	v_mul_f32_e32 v96, v18, v96                                // 000000006B10: 0AC0C112
	v_mul_f32_e32 v97, v18, v97                                // 000000006B14: 0AC2C312
	v_mul_f32_e32 v98, v18, v98                                // 000000006B18: 0AC4C512
	v_mul_f32_e32 v99, v18, v99                                // 000000006B1C: 0AC6C712
	v_mul_f32_e32 v100, v18, v100                              // 000000006B20: 0AC8C912
	v_mul_f32_e32 v101, v18, v101                              // 000000006B24: 0ACACB12
	v_mul_f32_e32 v102, v18, v102                              // 000000006B28: 0ACCCD12
	v_mul_f32_e32 v103, v18, v103                              // 000000006B2C: 0ACECF12
	v_mul_f32_e32 v104, v18, v104                              // 000000006B30: 0AD0D112
	v_mul_f32_e32 v105, v18, v105                              // 000000006B34: 0AD2D312
	v_mul_f32_e32 v106, v18, v106                              // 000000006B38: 0AD4D512
	v_mul_f32_e32 v107, v18, v107                              // 000000006B3C: 0AD6D712
	v_mul_f32_e32 v108, v18, v108                              // 000000006B40: 0AD8D912
	v_mul_f32_e32 v109, v18, v109                              // 000000006B44: 0ADADB12
	v_mul_f32_e32 v110, v18, v110                              // 000000006B48: 0ADCDD12
	v_mul_f32_e32 v111, v18, v111                              // 000000006B4C: 0ADEDF12
	v_mul_f32_e32 v112, v18, v112                              // 000000006B50: 0AE0E112
	v_mul_f32_e32 v113, v18, v113                              // 000000006B54: 0AE2E312
	v_mul_f32_e32 v114, v18, v114                              // 000000006B58: 0AE4E512
	v_mul_f32_e32 v115, v18, v115                              // 000000006B5C: 0AE6E712
	v_mul_f32_e32 v116, v18, v116                              // 000000006B60: 0AE8E912
	v_mul_f32_e32 v117, v18, v117                              // 000000006B64: 0AEAEB12
	v_mul_f32_e32 v118, v18, v118                              // 000000006B68: 0AECED12
	v_mul_f32_e32 v119, v18, v119                              // 000000006B6C: 0AEEEF12
	v_mul_f32_e32 v120, v18, v120                              // 000000006B70: 0AF0F112
	v_mul_f32_e32 v121, v18, v121                              // 000000006B74: 0AF2F312
	v_mul_f32_e32 v122, v18, v122                              // 000000006B78: 0AF4F512
	v_mul_f32_e32 v123, v18, v123                              // 000000006B7C: 0AF6F712
	v_mul_f32_e32 v124, v18, v124                              // 000000006B80: 0AF8F912
	v_mul_f32_e32 v125, v18, v125                              // 000000006B84: 0AFAFB12
	v_mul_f32_e32 v126, v18, v126                              // 000000006B88: 0AFCFD12
	v_mul_f32_e32 v127, v18, v127                              // 000000006B8C: 0AFEFF12
	s_waitcnt vmcnt(0)                                         // 000000006B90: BF8C0F70
	s_barrier                                                  // 000000006B94: BF8A0000
	v_mfma_f32_16x16x16_bf16 v[96:99], a[144:145], v[88:89], v[96:99]// 000000006B98: D3E10060 0D82B190
	v_mfma_f32_16x16x16_bf16 v[96:99], a[146:147], v[90:91], v[96:99]// 000000006BA0: D3E10060 0D82B592
	v_mfma_f32_16x16x16_bf16 v[96:99], a[148:149], v[92:93], v[96:99]// 000000006BA8: D3E10060 0D82B994
	v_mfma_f32_16x16x16_bf16 v[96:99], a[150:151], v[94:95], v[96:99]// 000000006BB0: D3E10060 0D82BD96
	v_mfma_f32_16x16x16_bf16 v[100:103], a[152:153], v[88:89], v[100:103]// 000000006BB8: D3E10064 0D92B198
	v_mfma_f32_16x16x16_bf16 v[100:103], a[154:155], v[90:91], v[100:103]// 000000006BC0: D3E10064 0D92B59A
	v_mfma_f32_16x16x16_bf16 v[100:103], a[156:157], v[92:93], v[100:103]// 000000006BC8: D3E10064 0D92B99C
	v_mfma_f32_16x16x16_bf16 v[100:103], a[158:159], v[94:95], v[100:103]// 000000006BD0: D3E10064 0D92BD9E
	v_mfma_f32_16x16x16_bf16 v[104:107], a[160:161], v[88:89], v[104:107]// 000000006BD8: D3E10068 0DA2B1A0
	v_mfma_f32_16x16x16_bf16 v[104:107], a[162:163], v[90:91], v[104:107]// 000000006BE0: D3E10068 0DA2B5A2
	v_mfma_f32_16x16x16_bf16 v[104:107], a[164:165], v[92:93], v[104:107]// 000000006BE8: D3E10068 0DA2B9A4
	v_mfma_f32_16x16x16_bf16 v[104:107], a[166:167], v[94:95], v[104:107]// 000000006BF0: D3E10068 0DA2BDA6
	v_mfma_f32_16x16x16_bf16 v[108:111], a[168:169], v[88:89], v[108:111]// 000000006BF8: D3E1006C 0DB2B1A8
	v_mfma_f32_16x16x16_bf16 v[108:111], a[170:171], v[90:91], v[108:111]// 000000006C00: D3E1006C 0DB2B5AA
	v_mfma_f32_16x16x16_bf16 v[108:111], a[172:173], v[92:93], v[108:111]// 000000006C08: D3E1006C 0DB2B9AC
	v_mfma_f32_16x16x16_bf16 v[108:111], a[174:175], v[94:95], v[108:111]// 000000006C10: D3E1006C 0DB2BDAE
	v_mfma_f32_16x16x16_bf16 v[112:115], a[176:177], v[88:89], v[112:115]// 000000006C18: D3E10070 0DC2B1B0
	v_mfma_f32_16x16x16_bf16 v[112:115], a[178:179], v[90:91], v[112:115]// 000000006C20: D3E10070 0DC2B5B2
	v_mfma_f32_16x16x16_bf16 v[112:115], a[180:181], v[92:93], v[112:115]// 000000006C28: D3E10070 0DC2B9B4
	v_mfma_f32_16x16x16_bf16 v[112:115], a[182:183], v[94:95], v[112:115]// 000000006C30: D3E10070 0DC2BDB6
	v_mfma_f32_16x16x16_bf16 v[116:119], a[184:185], v[88:89], v[116:119]// 000000006C38: D3E10074 0DD2B1B8
	v_mfma_f32_16x16x16_bf16 v[116:119], a[186:187], v[90:91], v[116:119]// 000000006C40: D3E10074 0DD2B5BA
	v_mfma_f32_16x16x16_bf16 v[116:119], a[188:189], v[92:93], v[116:119]// 000000006C48: D3E10074 0DD2B9BC
	v_mfma_f32_16x16x16_bf16 v[116:119], a[190:191], v[94:95], v[116:119]// 000000006C50: D3E10074 0DD2BDBE
	v_mfma_f32_16x16x16_bf16 v[120:123], a[192:193], v[88:89], v[120:123]// 000000006C58: D3E10078 0DE2B1C0
	v_mfma_f32_16x16x16_bf16 v[120:123], a[194:195], v[90:91], v[120:123]// 000000006C60: D3E10078 0DE2B5C2
	v_mfma_f32_16x16x16_bf16 v[120:123], a[196:197], v[92:93], v[120:123]// 000000006C68: D3E10078 0DE2B9C4
	v_mfma_f32_16x16x16_bf16 v[120:123], a[198:199], v[94:95], v[120:123]// 000000006C70: D3E10078 0DE2BDC6
	v_mfma_f32_16x16x16_bf16 v[124:127], a[200:201], v[88:89], v[124:127]// 000000006C78: D3E1007C 0DF2B1C8
	v_mfma_f32_16x16x16_bf16 v[124:127], a[202:203], v[90:91], v[124:127]// 000000006C80: D3E1007C 0DF2B5CA
	v_mfma_f32_16x16x16_bf16 v[124:127], a[204:205], v[92:93], v[124:127]// 000000006C88: D3E1007C 0DF2B9CC
	v_mfma_f32_16x16x16_bf16 v[124:127], a[206:207], v[94:95], v[124:127]// 000000006C90: D3E1007C 0DF2BDCE
	s_nop 8                                                    // 000000006C98: BF800008
	s_branch label_1477                                        // 000000006C9C: BF8201AD

0000000000006ca0 <label_12A8>:
	s_waitcnt vmcnt(0) expcnt(0) lgkmcnt(0)                    // 000000006CA0: BF8C0000
	s_barrier                                                  // 000000006CA4: BF8A0000
	v_mfma_f32_16x16x16_bf16 v[88:91], a[72:73], a[0:1], 0     // 000000006CA8: D3E10058 1A020148
	v_mfma_f32_16x16x16_bf16 v[88:91], a[74:75], a[2:3], v[88:91]// 000000006CB0: D3E10058 1D62054A
	v_mfma_f32_16x16x16_bf16 v[88:91], a[76:77], a[4:5], v[88:91]// 000000006CB8: D3E10058 1D62094C
	v_mfma_f32_16x16x16_bf16 v[88:91], a[78:79], a[6:7], v[88:91]// 000000006CC0: D3E10058 1D620D4E
	v_mfma_f32_16x16x16_bf16 v[88:91], a[80:81], a[8:9], v[88:91]// 000000006CC8: D3E10058 1D621150
	v_mfma_f32_16x16x16_bf16 v[88:91], a[82:83], a[10:11], v[88:91]// 000000006CD0: D3E10058 1D621552
	v_mfma_f32_16x16x16_bf16 v[88:91], a[84:85], a[12:13], v[88:91]// 000000006CD8: D3E10058 1D621954
	v_mfma_f32_16x16x16_bf16 v[88:91], a[86:87], a[14:15], v[88:91]// 000000006CE0: D3E10058 1D621D56
	v_mfma_f32_16x16x16_bf16 v[88:91], a[88:89], a[16:17], v[88:91]// 000000006CE8: D3E10058 1D622158
	v_mfma_f32_16x16x16_bf16 v[88:91], a[90:91], a[18:19], v[88:91]// 000000006CF0: D3E10058 1D62255A
	v_mfma_f32_16x16x16_bf16 v[88:91], a[92:93], a[20:21], v[88:91]// 000000006CF8: D3E10058 1D62295C
	v_mfma_f32_16x16x16_bf16 v[88:91], a[94:95], a[22:23], v[88:91]// 000000006D00: D3E10058 1D622D5E
	v_mfma_f32_16x16x16_bf16 v[88:91], a[96:97], a[24:25], v[88:91]// 000000006D08: D3E10058 1D623160
	v_mfma_f32_16x16x16_bf16 v[88:91], a[98:99], a[26:27], v[88:91]// 000000006D10: D3E10058 1D623562
	v_mfma_f32_16x16x16_bf16 v[88:91], a[100:101], a[28:29], v[88:91]// 000000006D18: D3E10058 1D623964
	v_mfma_f32_16x16x16_bf16 v[88:91], a[102:103], a[30:31], v[88:91]// 000000006D20: D3E10058 1D623D66
	v_mfma_f32_16x16x16_bf16 v[88:91], a[104:105], a[32:33], v[88:91]// 000000006D28: D3E10058 1D624168
	v_mfma_f32_16x16x16_bf16 v[88:91], a[106:107], a[34:35], v[88:91]// 000000006D30: D3E10058 1D62456A
	v_mfma_f32_16x16x16_bf16 v[88:91], a[108:109], a[36:37], v[88:91]// 000000006D38: D3E10058 1D62496C
	v_mfma_f32_16x16x16_bf16 v[88:91], a[110:111], a[38:39], v[88:91]// 000000006D40: D3E10058 1D624D6E
	v_mfma_f32_16x16x16_bf16 v[88:91], a[112:113], a[40:41], v[88:91]// 000000006D48: D3E10058 1D625170
	v_mfma_f32_16x16x16_bf16 v[88:91], a[114:115], a[42:43], v[88:91]// 000000006D50: D3E10058 1D625572
	v_mfma_f32_16x16x16_bf16 v[88:91], a[116:117], a[44:45], v[88:91]// 000000006D58: D3E10058 1D625974
	v_mfma_f32_16x16x16_bf16 v[88:91], a[118:119], a[46:47], v[88:91]// 000000006D60: D3E10058 1D625D76
	v_mfma_f32_16x16x16_bf16 v[88:91], a[120:121], a[48:49], v[88:91]// 000000006D68: D3E10058 1D626178
	v_mfma_f32_16x16x16_bf16 v[88:91], a[122:123], a[50:51], v[88:91]// 000000006D70: D3E10058 1D62657A
	v_mfma_f32_16x16x16_bf16 v[88:91], a[124:125], a[52:53], v[88:91]// 000000006D78: D3E10058 1D62697C
	v_mfma_f32_16x16x16_bf16 v[88:91], a[126:127], a[54:55], v[88:91]// 000000006D80: D3E10058 1D626D7E
	v_mfma_f32_16x16x16_bf16 v[88:91], a[128:129], a[56:57], v[88:91]// 000000006D88: D3E10058 1D627180
	v_mfma_f32_16x16x16_bf16 v[88:91], a[130:131], a[58:59], v[88:91]// 000000006D90: D3E10058 1D627582
	v_mfma_f32_16x16x16_bf16 v[88:91], a[132:133], a[60:61], v[88:91]// 000000006D98: D3E10058 1D627984
	v_mfma_f32_16x16x16_bf16 v[88:91], a[134:135], a[62:63], v[88:91]// 000000006DA0: D3E10058 1D627D86
	v_mfma_f32_16x16x16_bf16 v[88:91], a[136:137], a[64:65], v[88:91]// 000000006DA8: D3E10058 1D628188
	v_mfma_f32_16x16x16_bf16 v[88:91], a[138:139], a[66:67], v[88:91]// 000000006DB0: D3E10058 1D62858A
	v_mfma_f32_16x16x16_bf16 v[88:91], a[140:141], a[68:69], v[88:91]// 000000006DB8: D3E10058 1D62898C
	v_mfma_f32_16x16x16_bf16 v[88:91], a[142:143], a[70:71], v[88:91]// 000000006DC0: D3E10058 1D628D8E
	s_nop 8                                                    // 000000006DC8: BF800008
	s_cmp_le_i32 s83, s82                                      // 000000006DCC: BF055253
	s_cbranch_scc1 label_1317                                  // 000000006DD0: BF850022
	v_mov_b32_e32 v11, 0xff800000                              // 000000006DD4: 7E1602FF FF800000
	v_lshrrev_b32_e32 v32, 3, v0                               // 000000006DDC: 20400083
	v_and_b32_e32 v32, 1, v32                                  // 000000006DE0: 26404081
	v_add_u32_e32 v32, s82, v32                                // 000000006DE4: 68404052
	s_mul_i32 s57, s7, 16                                      // 000000006DE8: 92399007
	s_sub_u32 s56, s83, 63                                     // 000000006DEC: 80B8BF53
	v_lshrrev_b32_e32 v44, 4, v0                               // 000000006DF0: 20580084
	v_mul_i32_i24_e32 v44, 4, v44                              // 000000006DF4: 0C585884
	v_add_u32_e32 v44, s56, v44                                // 000000006DF8: 68585838
	v_add_u32_e32 v44, s57, v44                                // 000000006DFC: 68585839
	v_add_u32_e32 v45, 1, v44                                  // 000000006E00: 685A5881
	v_add_u32_e32 v46, 2, v44                                  // 000000006E04: 685C5882
	v_add_u32_e32 v47, 3, v44                                  // 000000006E08: 685E5883
	v_cmp_le_u32_e64 s[34:35], v44, v32                        // 000000006E0C: D0CB0022 0002412C
	s_nop 0                                                    // 000000006E14: BF800000
	v_cndmask_b32_e64 v88, v11, v88, s[34:35]                  // 000000006E18: D1000058 008AB10B
	v_cmp_le_u32_e64 s[34:35], v45, v32                        // 000000006E20: D0CB0022 0002412D
	s_nop 0                                                    // 000000006E28: BF800000
	v_cndmask_b32_e64 v89, v11, v89, s[34:35]                  // 000000006E2C: D1000059 008AB30B
	v_cmp_le_u32_e64 s[34:35], v46, v32                        // 000000006E34: D0CB0022 0002412E
	s_nop 0                                                    // 000000006E3C: BF800000
	v_cndmask_b32_e64 v90, v11, v90, s[34:35]                  // 000000006E40: D100005A 008AB50B
	v_cmp_le_u32_e64 s[34:35], v47, v32                        // 000000006E48: D0CB0022 0002412F
	s_nop 0                                                    // 000000006E50: BF800000
	v_cndmask_b32_e64 v91, v11, v91, s[34:35]                  // 000000006E54: D100005B 008AB70B

0000000000006e5c <label_1317>:
	s_and_b32 s56, s48, 0xff                                   // 000000006E5C: 8638FF30 000000FF
	v_mov_b32_e32 v43, s56                                     // 000000006E64: 7E560238
	v_lshrrev_b32_e32 v44, 4, v0                               // 000000006E68: 20580084
	v_mul_i32_i24_e32 v44, 4, v44                              // 000000006E6C: 0C585884
	s_mul_i32 s56, s7, 16                                      // 000000006E70: 92389007
	v_add_u32_e32 v44, s56, v44                                // 000000006E74: 68585838
	v_add_u32_e32 v45, 1, v44                                  // 000000006E78: 685A5881
	v_add_u32_e32 v46, 2, v44                                  // 000000006E7C: 685C5882
	v_add_u32_e32 v47, 3, v44                                  // 000000006E80: 685E5883
	v_cmp_lt_u32_e64 s[34:35], v44, v43                        // 000000006E84: D0C90022 0002572C
	v_add_u32_e32 v44, 64, v44                                 // 000000006E8C: 685858C0
	s_nop 0                                                    // 000000006E90: BF800000
	v_cndmask_b32_e64 v88, v11, v88, s[34:35]                  // 000000006E94: D1000058 008AB10B
	v_cmp_lt_u32_e64 s[34:35], v45, v43                        // 000000006E9C: D0C90022 0002572D
	v_add_u32_e32 v45, 64, v45                                 // 000000006EA4: 685A5AC0
	s_nop 0                                                    // 000000006EA8: BF800000
	v_cndmask_b32_e64 v89, v11, v89, s[34:35]                  // 000000006EAC: D1000059 008AB30B
	v_cmp_lt_u32_e64 s[34:35], v46, v43                        // 000000006EB4: D0C90022 0002572E
	v_add_u32_e32 v46, 64, v46                                 // 000000006EBC: 685C5CC0
	s_nop 0                                                    // 000000006EC0: BF800000
	v_cndmask_b32_e64 v90, v11, v90, s[34:35]                  // 000000006EC4: D100005A 008AB50B
	v_cmp_lt_u32_e64 s[34:35], v47, v43                        // 000000006ECC: D0C90022 0002572F
	v_add_u32_e32 v47, 64, v47                                 // 000000006ED4: 685E5EC0
	s_nop 0                                                    // 000000006ED8: BF800000
	v_cndmask_b32_e64 v91, v11, v91, s[34:35]                  // 000000006EDC: D100005B 008AB70B
	s_nop 8                                                    // 000000006EE4: BF800008
	v_mov_b32_e32 v8, v88                                      // 000000006EE8: 7E100358
	v_max3_f32 v8, v88, v89, v8                                // 000000006EEC: D1D30008 0422B358
	v_max3_f32 v8, v90, v91, v8                                // 000000006EF4: D1D30008 0422B75A
	ds_write_b32 v5, v8 offset:41600                           // 000000006EFC: D81AA280 00000805
	s_waitcnt lgkmcnt(0)                                       // 000000006F04: BF8CC07F
	s_barrier                                                  // 000000006F08: BF8A0000
	ds_read_b32 v56, v4 offset:41600                           // 000000006F0C: D86CA280 38000004
	ds_read_b32 v57, v4 offset:41664                           // 000000006F14: D86CA2C0 39000004
	ds_read_b32 v58, v4 offset:41728                           // 000000006F1C: D86CA300 3A000004
	ds_read_b32 v59, v4 offset:41792                           // 000000006F24: D86CA340 3B000004
	ds_read_b32 v60, v4 offset:41856                           // 000000006F2C: D86CA380 3C000004
	ds_read_b32 v61, v4 offset:41920                           // 000000006F34: D86CA3C0 3D000004
	ds_read_b32 v62, v4 offset:41984                           // 000000006F3C: D86CA400 3E000004
	ds_read_b32 v63, v4 offset:42048                           // 000000006F44: D86CA440 3F000004
	ds_read_b32 v64, v4 offset:42112                           // 000000006F4C: D86CA480 40000004
	ds_read_b32 v65, v4 offset:42176                           // 000000006F54: D86CA4C0 41000004
	ds_read_b32 v66, v4 offset:42240                           // 000000006F5C: D86CA500 42000004
	ds_read_b32 v67, v4 offset:42304                           // 000000006F64: D86CA540 43000004
	ds_read_b32 v68, v4 offset:42368                           // 000000006F6C: D86CA580 44000004
	ds_read_b32 v69, v4 offset:42432                           // 000000006F74: D86CA5C0 45000004
	ds_read_b32 v70, v4 offset:42496                           // 000000006F7C: D86CA600 46000004
	ds_read_b32 v71, v4 offset:42560                           // 000000006F84: D86CA640 47000004
	s_waitcnt lgkmcnt(0)                                       // 000000006F8C: BF8CC07F
	v_max3_f32 v8, v56, v57, v8                                // 000000006F90: D1D30008 04227338
	v_max3_f32 v8, v58, v59, v8                                // 000000006F98: D1D30008 0422773A
	v_max3_f32 v8, v60, v61, v8                                // 000000006FA0: D1D30008 04227B3C
	v_max3_f32 v8, v62, v63, v8                                // 000000006FA8: D1D30008 04227F3E
	v_max3_f32 v8, v64, v65, v8                                // 000000006FB0: D1D30008 04228340
	v_max3_f32 v8, v66, v67, v8                                // 000000006FB8: D1D30008 04228742
	v_max3_f32 v8, v68, v69, v8                                // 000000006FC0: D1D30008 04228B44
	v_max3_f32 v8, v70, v71, v8                                // 000000006FC8: D1D30008 04228F46
	v_cmp_eq_u32_e64 s[34:35], v11, v12                        // 000000006FD0: D0CA0022 0002190B
	v_max_f32_e32 v13, v8, v12                                 // 000000006FD8: 161A1908
	v_sub_f32_e32 v18, v12, v13                                // 000000006FDC: 04241B0C
	v_cndmask_b32_e64 v18, v18, 0, s[34:35]                    // 000000006FE0: D1000012 00890112
	v_mov_b32_e32 v12, v13                                     // 000000006FE8: 7E18030D
	v_mul_f32_e32 v9, s5, v13                                  // 000000006FEC: 0A121A05
	v_mul_f32_e32 v18, s5, v18                                 // 000000006FF0: 0A242405
	v_exp_f32_e32 v18, v18                                     // 000000006FF4: 7E244112
	v_fma_f32 v88, v88, s5, -v9                                // 000000006FF8: D1CB0058 84240B58
	v_fma_f32 v89, v89, s5, -v9                                // 000000007000: D1CB0059 84240B59
	v_fma_f32 v90, v90, s5, -v9                                // 000000007008: D1CB005A 84240B5A
	v_fma_f32 v91, v91, s5, -v9                                // 000000007010: D1CB005B 84240B5B
	v_exp_f32_e32 v88, v88                                     // 000000007018: 7EB04158
	v_exp_f32_e32 v89, v89                                     // 00000000701C: 7EB24159
	v_exp_f32_e32 v90, v90                                     // 000000007020: 7EB4415A
	v_exp_f32_e32 v91, v91                                     // 000000007024: 7EB6415B
	v_mul_f32_e32 v14, v18, v14                                // 000000007028: 0A1C1D12
	v_mov_b32_e32 v15, v88                                     // 00000000702C: 7E1E0358
	v_add_f32_e32 v15, v89, v15                                // 000000007030: 021E1F59
	v_add_f32_e32 v15, v90, v15                                // 000000007034: 021E1F5A
	v_add_f32_e32 v15, v91, v15                                // 000000007038: 021E1F5B
	v_add_f32_e32 v14, v15, v14                                // 00000000703C: 021C1D0F
	v_cmp_u_f32_e64 s[34:35], v88, v88                         // 000000007040: D0480022 0002B158
	v_add3_u32 v28, v88, v31, 1                                // 000000007048: D1FF001C 02063F58
	v_cndmask_b32_e64 v32, v28, v30, s[34:35]                  // 000000007050: D1000020 008A3D1C
	v_cmp_u_f32_e64 s[34:35], v89, v89                         // 000000007058: D0480022 0002B359
	v_add3_u32 v28, v89, v31, 1                                // 000000007060: D1FF001C 02063F59
	v_cndmask_b32_e64 v33, v28, v30, s[34:35]                  // 000000007068: D1000021 008A3D1C
	v_perm_b32 v88, v33, v32, s52                              // 000000007070: D1ED0058 00D24121
	v_cmp_u_f32_e64 s[34:35], v90, v90                         // 000000007078: D0480022 0002B55A
	v_add3_u32 v28, v90, v31, 1                                // 000000007080: D1FF001C 02063F5A
	v_cndmask_b32_e64 v32, v28, v30, s[34:35]                  // 000000007088: D1000020 008A3D1C
	v_cmp_u_f32_e64 s[34:35], v91, v91                         // 000000007090: D0480022 0002B75B
	v_add3_u32 v28, v91, v31, 1                                // 000000007098: D1FF001C 02063F5B
	v_cndmask_b32_e64 v33, v28, v30, s[34:35]                  // 0000000070A0: D1000021 008A3D1C
	v_perm_b32 v89, v33, v32, s52                              // 0000000070A8: D1ED0059 00D24121
	ds_write_b64 v7, v[88:89] offset:42624                     // 0000000070B0: D89AA680 00005807
	s_waitcnt lgkmcnt(0)                                       // 0000000070B8: BF8CC07F
	s_barrier                                                  // 0000000070BC: BF8A0000
	ds_read_b64 v[88:89], v6 offset:42624                      // 0000000070C0: D8ECA680 58000006
	ds_read_b64 v[90:91], v6 offset:42752                      // 0000000070C8: D8ECA700 5A000006
	ds_read_b64 v[92:93], v6 offset:43648                      // 0000000070D0: D8ECAA80 5C000006
	ds_read_b64 v[94:95], v6 offset:43776                      // 0000000070D8: D8ECAB00 5E000006
	v_mul_u32_u24_dpp v40, v24, v10 row_newbcast:0 row_mask:0xf bank_mask:0xf// 0000000070E0: 105014FA FF015018
	v_mul_u32_u24_dpp v41, v24, v10 row_newbcast:1 row_mask:0xf bank_mask:0xf// 0000000070E8: 105214FA FF015118
	v_mul_u32_u24_dpp v42, v24, v10 row_newbcast:2 row_mask:0xf bank_mask:0xf// 0000000070F0: 105414FA FF015218
	v_mul_u32_u24_dpp v43, v24, v10 row_newbcast:3 row_mask:0xf bank_mask:0xf// 0000000070F8: 105614FA FF015318
	v_mul_u32_u24_dpp v44, v24, v10 row_newbcast:4 row_mask:0xf bank_mask:0xf// 000000007100: 105814FA FF015418
	v_mul_u32_u24_dpp v45, v24, v10 row_newbcast:5 row_mask:0xf bank_mask:0xf// 000000007108: 105A14FA FF015518
	v_mul_u32_u24_dpp v46, v24, v10 row_newbcast:6 row_mask:0xf bank_mask:0xf// 000000007110: 105C14FA FF015618
	v_mul_u32_u24_dpp v47, v24, v10 row_newbcast:7 row_mask:0xf bank_mask:0xf// 000000007118: 105E14FA FF015718
	v_mul_u32_u24_dpp v48, v24, v10 row_newbcast:8 row_mask:0xf bank_mask:0xf// 000000007120: 106014FA FF015818
	v_mul_u32_u24_dpp v49, v24, v10 row_newbcast:9 row_mask:0xf bank_mask:0xf// 000000007128: 106214FA FF015918
	v_mul_u32_u24_dpp v50, v24, v10 row_newbcast:10 row_mask:0xf bank_mask:0xf// 000000007130: 106414FA FF015A18
	v_mul_u32_u24_dpp v51, v24, v10 row_newbcast:11 row_mask:0xf bank_mask:0xf// 000000007138: 106614FA FF015B18
	v_mul_u32_u24_dpp v52, v24, v10 row_newbcast:12 row_mask:0xf bank_mask:0xf// 000000007140: 106814FA FF015C18
	v_mul_u32_u24_dpp v53, v24, v10 row_newbcast:13 row_mask:0xf bank_mask:0xf// 000000007148: 106A14FA FF015D18
	v_mul_u32_u24_dpp v54, v24, v10 row_newbcast:14 row_mask:0xf bank_mask:0xf// 000000007150: 106C14FA FF015E18
	v_mul_u32_u24_dpp v55, v24, v10 row_newbcast:15 row_mask:0xf bank_mask:0xf// 000000007158: 106E14FA FF015F18
	s_mov_b32 s56, m0                                          // 000000007160: BEB8007C
	s_set_gpr_idx_on s51, gpr_idx(SRC0)                        // 000000007164: BF110133
	v_add_u32_e32 v36, v40, v3                                 // 000000007168: 68480728
	v_add_u32_e32 v37, v41, v3                                 // 00000000716C: 684A0729
	v_add_u32_e32 v38, v42, v3                                 // 000000007170: 684C072A
	v_add_u32_e32 v39, v43, v3                                 // 000000007174: 684E072B
	s_set_gpr_idx_off                                          // 000000007178: BF9C0000
	s_mov_b32 m0, s56                                          // 00000000717C: BEFC0038
	v_add_u32_e32 v40, v40, v2                                 // 000000007180: 68500528
	v_add_u32_e32 v41, v41, v2                                 // 000000007184: 68520529
	v_add_u32_e32 v42, v42, v2                                 // 000000007188: 6854052A
	v_add_u32_e32 v43, v43, v2                                 // 00000000718C: 6856052B
	v_add_u32_e32 v44, v44, v2                                 // 000000007190: 6858052C
	v_add_u32_e32 v45, v45, v2                                 // 000000007194: 685A052D
	v_add_u32_e32 v46, v46, v2                                 // 000000007198: 685C052E
	v_add_u32_e32 v47, v47, v2                                 // 00000000719C: 685E052F
	v_add_u32_e32 v48, v48, v2                                 // 0000000071A0: 68600530
	v_add_u32_e32 v49, v49, v2                                 // 0000000071A4: 68620531
	v_add_u32_e32 v50, v50, v2                                 // 0000000071A8: 68640532
	v_add_u32_e32 v51, v51, v2                                 // 0000000071AC: 68660533
	v_add_u32_e32 v52, v52, v2                                 // 0000000071B0: 68680534
	v_add_u32_e32 v53, v53, v2                                 // 0000000071B4: 686A0535
	v_add_u32_e32 v54, v54, v2                                 // 0000000071B8: 686C0536
	v_add_u32_e32 v55, v55, v2                                 // 0000000071BC: 686E0537
	s_waitcnt lgkmcnt(0)                                       // 0000000071C0: BF8CC07F
	v_mul_f32_e32 v96, v18, v96                                // 0000000071C4: 0AC0C112
	v_mul_f32_e32 v97, v18, v97                                // 0000000071C8: 0AC2C312
	v_mul_f32_e32 v98, v18, v98                                // 0000000071CC: 0AC4C512
	v_mul_f32_e32 v99, v18, v99                                // 0000000071D0: 0AC6C712
	v_mul_f32_e32 v100, v18, v100                              // 0000000071D4: 0AC8C912
	v_mul_f32_e32 v101, v18, v101                              // 0000000071D8: 0ACACB12
	v_mul_f32_e32 v102, v18, v102                              // 0000000071DC: 0ACCCD12
	v_mul_f32_e32 v103, v18, v103                              // 0000000071E0: 0ACECF12
	v_mul_f32_e32 v104, v18, v104                              // 0000000071E4: 0AD0D112
	v_mul_f32_e32 v105, v18, v105                              // 0000000071E8: 0AD2D312
	v_mul_f32_e32 v106, v18, v106                              // 0000000071EC: 0AD4D512
	v_mul_f32_e32 v107, v18, v107                              // 0000000071F0: 0AD6D712
	v_mul_f32_e32 v108, v18, v108                              // 0000000071F4: 0AD8D912
	v_mul_f32_e32 v109, v18, v109                              // 0000000071F8: 0ADADB12
	v_mul_f32_e32 v110, v18, v110                              // 0000000071FC: 0ADCDD12
	v_mul_f32_e32 v111, v18, v111                              // 000000007200: 0ADEDF12
	v_mul_f32_e32 v112, v18, v112                              // 000000007204: 0AE0E112
	v_mul_f32_e32 v113, v18, v113                              // 000000007208: 0AE2E312
	v_mul_f32_e32 v114, v18, v114                              // 00000000720C: 0AE4E512
	v_mul_f32_e32 v115, v18, v115                              // 000000007210: 0AE6E712
	v_mul_f32_e32 v116, v18, v116                              // 000000007214: 0AE8E912
	v_mul_f32_e32 v117, v18, v117                              // 000000007218: 0AEAEB12
	v_mul_f32_e32 v118, v18, v118                              // 00000000721C: 0AECED12
	v_mul_f32_e32 v119, v18, v119                              // 000000007220: 0AEEEF12
	v_mul_f32_e32 v120, v18, v120                              // 000000007224: 0AF0F112
	v_mul_f32_e32 v121, v18, v121                              // 000000007228: 0AF2F312
	v_mul_f32_e32 v122, v18, v122                              // 00000000722C: 0AF4F512
	v_mul_f32_e32 v123, v18, v123                              // 000000007230: 0AF6F712
	v_mul_f32_e32 v124, v18, v124                              // 000000007234: 0AF8F912
	v_mul_f32_e32 v125, v18, v125                              // 000000007238: 0AFAFB12
	v_mul_f32_e32 v126, v18, v126                              // 00000000723C: 0AFCFD12
	v_mul_f32_e32 v127, v18, v127                              // 000000007240: 0AFEFF12
	s_waitcnt vmcnt(0)                                         // 000000007244: BF8C0F70
	s_barrier                                                  // 000000007248: BF8A0000
	v_mfma_f32_16x16x16_bf16 v[96:99], a[144:145], v[88:89], v[96:99]// 00000000724C: D3E10060 0D82B190
	v_mfma_f32_16x16x16_bf16 v[96:99], a[146:147], v[90:91], v[96:99]// 000000007254: D3E10060 0D82B592
	v_mfma_f32_16x16x16_bf16 v[96:99], a[148:149], v[92:93], v[96:99]// 00000000725C: D3E10060 0D82B994
	v_mfma_f32_16x16x16_bf16 v[96:99], a[150:151], v[94:95], v[96:99]// 000000007264: D3E10060 0D82BD96
	v_mfma_f32_16x16x16_bf16 v[100:103], a[152:153], v[88:89], v[100:103]// 00000000726C: D3E10064 0D92B198
	v_mfma_f32_16x16x16_bf16 v[100:103], a[154:155], v[90:91], v[100:103]// 000000007274: D3E10064 0D92B59A
	v_mfma_f32_16x16x16_bf16 v[100:103], a[156:157], v[92:93], v[100:103]// 00000000727C: D3E10064 0D92B99C
	v_mfma_f32_16x16x16_bf16 v[100:103], a[158:159], v[94:95], v[100:103]// 000000007284: D3E10064 0D92BD9E
	v_mfma_f32_16x16x16_bf16 v[104:107], a[160:161], v[88:89], v[104:107]// 00000000728C: D3E10068 0DA2B1A0
	v_mfma_f32_16x16x16_bf16 v[104:107], a[162:163], v[90:91], v[104:107]// 000000007294: D3E10068 0DA2B5A2
	v_mfma_f32_16x16x16_bf16 v[104:107], a[164:165], v[92:93], v[104:107]// 00000000729C: D3E10068 0DA2B9A4
	v_mfma_f32_16x16x16_bf16 v[104:107], a[166:167], v[94:95], v[104:107]// 0000000072A4: D3E10068 0DA2BDA6
	v_mfma_f32_16x16x16_bf16 v[108:111], a[168:169], v[88:89], v[108:111]// 0000000072AC: D3E1006C 0DB2B1A8
	v_mfma_f32_16x16x16_bf16 v[108:111], a[170:171], v[90:91], v[108:111]// 0000000072B4: D3E1006C 0DB2B5AA
	v_mfma_f32_16x16x16_bf16 v[108:111], a[172:173], v[92:93], v[108:111]// 0000000072BC: D3E1006C 0DB2B9AC
	v_mfma_f32_16x16x16_bf16 v[108:111], a[174:175], v[94:95], v[108:111]// 0000000072C4: D3E1006C 0DB2BDAE
	v_mfma_f32_16x16x16_bf16 v[112:115], a[176:177], v[88:89], v[112:115]// 0000000072CC: D3E10070 0DC2B1B0
	v_mfma_f32_16x16x16_bf16 v[112:115], a[178:179], v[90:91], v[112:115]// 0000000072D4: D3E10070 0DC2B5B2
	v_mfma_f32_16x16x16_bf16 v[112:115], a[180:181], v[92:93], v[112:115]// 0000000072DC: D3E10070 0DC2B9B4
	v_mfma_f32_16x16x16_bf16 v[112:115], a[182:183], v[94:95], v[112:115]// 0000000072E4: D3E10070 0DC2BDB6
	v_mfma_f32_16x16x16_bf16 v[116:119], a[184:185], v[88:89], v[116:119]// 0000000072EC: D3E10074 0DD2B1B8
	v_mfma_f32_16x16x16_bf16 v[116:119], a[186:187], v[90:91], v[116:119]// 0000000072F4: D3E10074 0DD2B5BA
	v_mfma_f32_16x16x16_bf16 v[116:119], a[188:189], v[92:93], v[116:119]// 0000000072FC: D3E10074 0DD2B9BC
	v_mfma_f32_16x16x16_bf16 v[116:119], a[190:191], v[94:95], v[116:119]// 000000007304: D3E10074 0DD2BDBE
	v_mfma_f32_16x16x16_bf16 v[120:123], a[192:193], v[88:89], v[120:123]// 00000000730C: D3E10078 0DE2B1C0
	v_mfma_f32_16x16x16_bf16 v[120:123], a[194:195], v[90:91], v[120:123]// 000000007314: D3E10078 0DE2B5C2
	v_mfma_f32_16x16x16_bf16 v[120:123], a[196:197], v[92:93], v[120:123]// 00000000731C: D3E10078 0DE2B9C4
	v_mfma_f32_16x16x16_bf16 v[120:123], a[198:199], v[94:95], v[120:123]// 000000007324: D3E10078 0DE2BDC6
	v_mfma_f32_16x16x16_bf16 v[124:127], a[200:201], v[88:89], v[124:127]// 00000000732C: D3E1007C 0DF2B1C8
	v_mfma_f32_16x16x16_bf16 v[124:127], a[202:203], v[90:91], v[124:127]// 000000007334: D3E1007C 0DF2B5CA
	v_mfma_f32_16x16x16_bf16 v[124:127], a[204:205], v[92:93], v[124:127]// 00000000733C: D3E1007C 0DF2B9CC
	v_mfma_f32_16x16x16_bf16 v[124:127], a[206:207], v[94:95], v[124:127]// 000000007344: D3E1007C 0DF2BDCE
	s_nop 8                                                    // 00000000734C: BF800008
	s_branch label_1477                                        // 000000007350: BF820000

0000000000007354 <label_1477>:
	ds_write_b32 v5, v14 offset:41600                          // 000000007354: D81AA280 00000E05
	s_waitcnt lgkmcnt(0)                                       // 00000000735C: BF8CC07F
	s_barrier                                                  // 000000007360: BF8A0000
	ds_read_b32 v56, v4 offset:41600                           // 000000007364: D86CA280 38000004
	ds_read_b32 v57, v4 offset:41664                           // 00000000736C: D86CA2C0 39000004
	ds_read_b32 v58, v4 offset:41728                           // 000000007374: D86CA300 3A000004
	ds_read_b32 v59, v4 offset:41792                           // 00000000737C: D86CA340 3B000004
	ds_read_b32 v60, v4 offset:41856                           // 000000007384: D86CA380 3C000004
	ds_read_b32 v61, v4 offset:41920                           // 00000000738C: D86CA3C0 3D000004
	ds_read_b32 v62, v4 offset:41984                           // 000000007394: D86CA400 3E000004
	ds_read_b32 v63, v4 offset:42048                           // 00000000739C: D86CA440 3F000004
	ds_read_b32 v64, v4 offset:42112                           // 0000000073A4: D86CA480 40000004
	ds_read_b32 v65, v4 offset:42176                           // 0000000073AC: D86CA4C0 41000004
	ds_read_b32 v66, v4 offset:42240                           // 0000000073B4: D86CA500 42000004
	ds_read_b32 v67, v4 offset:42304                           // 0000000073BC: D86CA540 43000004
	ds_read_b32 v68, v4 offset:42368                           // 0000000073C4: D86CA580 44000004
	ds_read_b32 v69, v4 offset:42432                           // 0000000073CC: D86CA5C0 45000004
	ds_read_b32 v70, v4 offset:42496                           // 0000000073D4: D86CA600 46000004
	ds_read_b32 v71, v4 offset:42560                           // 0000000073DC: D86CA640 47000004
	s_waitcnt lgkmcnt(0)                                       // 0000000073E4: BF8CC07F
	v_mov_b32_e32 v14, 0                                       // 0000000073E8: 7E1C0280
	v_add_f32_e32 v14, v56, v14                                // 0000000073EC: 021C1D38
	v_add_f32_e32 v14, v57, v14                                // 0000000073F0: 021C1D39
	v_add_f32_e32 v14, v58, v14                                // 0000000073F4: 021C1D3A
	v_add_f32_e32 v14, v59, v14                                // 0000000073F8: 021C1D3B
	v_add_f32_e32 v14, v60, v14                                // 0000000073FC: 021C1D3C
	v_add_f32_e32 v14, v61, v14                                // 000000007400: 021C1D3D
	v_add_f32_e32 v14, v62, v14                                // 000000007404: 021C1D3E
	v_add_f32_e32 v14, v63, v14                                // 000000007408: 021C1D3F
	v_add_f32_e32 v14, v64, v14                                // 00000000740C: 021C1D40
	v_add_f32_e32 v14, v65, v14                                // 000000007410: 021C1D41
	v_add_f32_e32 v14, v66, v14                                // 000000007414: 021C1D42
	v_add_f32_e32 v14, v67, v14                                // 000000007418: 021C1D43
	v_add_f32_e32 v14, v68, v14                                // 00000000741C: 021C1D44
	v_add_f32_e32 v14, v69, v14                                // 000000007420: 021C1D45
	v_add_f32_e32 v14, v70, v14                                // 000000007424: 021C1D46
	v_add_f32_e32 v14, v71, v14                                // 000000007428: 021C1D47
	v_mul_f32_e64 v32, v12, s64                                // 00000000742C: D1050020 0000810C
	v_log_f32_e32 v33, v14                                     // 000000007434: 7E42430E
	s_nop 1                                                    // 000000007438: BF800001
	v_rcp_f32_e32 v14, v14                                     // 00000000743C: 7E1C450E
	s_nop 1                                                    // 000000007440: BF800001
	v_fma_f32 v42, v33, s63, v32                               // 000000007444: D1CB002A 04807F21
	v_mul_f32_e32 v96, v14, v96                                // 00000000744C: 0AC0C10E
	v_mul_f32_e32 v97, v14, v97                                // 000000007450: 0AC2C30E
	v_mul_f32_e32 v98, v14, v98                                // 000000007454: 0AC4C50E
	v_mul_f32_e32 v99, v14, v99                                // 000000007458: 0AC6C70E
	v_mul_f32_e32 v100, v14, v100                              // 00000000745C: 0AC8C90E
	v_mul_f32_e32 v101, v14, v101                              // 000000007460: 0ACACB0E
	v_mul_f32_e32 v102, v14, v102                              // 000000007464: 0ACCCD0E
	v_mul_f32_e32 v103, v14, v103                              // 000000007468: 0ACECF0E
	v_mul_f32_e32 v104, v14, v104                              // 00000000746C: 0AD0D10E
	v_mul_f32_e32 v105, v14, v105                              // 000000007470: 0AD2D30E
	v_mul_f32_e32 v106, v14, v106                              // 000000007474: 0AD4D50E
	v_mul_f32_e32 v107, v14, v107                              // 000000007478: 0AD6D70E
	v_mul_f32_e32 v108, v14, v108                              // 00000000747C: 0AD8D90E
	v_mul_f32_e32 v109, v14, v109                              // 000000007480: 0ADADB0E
	v_mul_f32_e32 v110, v14, v110                              // 000000007484: 0ADCDD0E
	v_mul_f32_e32 v111, v14, v111                              // 000000007488: 0ADEDF0E
	v_mul_f32_e32 v112, v14, v112                              // 00000000748C: 0AE0E10E
	v_mul_f32_e32 v113, v14, v113                              // 000000007490: 0AE2E30E
	v_mul_f32_e32 v114, v14, v114                              // 000000007494: 0AE4E50E
	v_mul_f32_e32 v115, v14, v115                              // 000000007498: 0AE6E70E
	v_mul_f32_e32 v116, v14, v116                              // 00000000749C: 0AE8E90E
	v_mul_f32_e32 v117, v14, v117                              // 0000000074A0: 0AEAEB0E
	v_mul_f32_e32 v118, v14, v118                              // 0000000074A4: 0AECED0E
	v_mul_f32_e32 v119, v14, v119                              // 0000000074A8: 0AEEEF0E
	v_mul_f32_e32 v120, v14, v120                              // 0000000074AC: 0AF0F10E
	v_mul_f32_e32 v121, v14, v121                              // 0000000074B0: 0AF2F30E
	v_mul_f32_e32 v122, v14, v122                              // 0000000074B4: 0AF4F50E
	v_mul_f32_e32 v123, v14, v123                              // 0000000074B8: 0AF6F70E
	v_mul_f32_e32 v124, v14, v124                              // 0000000074BC: 0AF8F90E
	v_mul_f32_e32 v125, v14, v125                              // 0000000074C0: 0AFAFB0E
	v_mul_f32_e32 v126, v14, v126                              // 0000000074C4: 0AFCFD0E
	v_mul_f32_e32 v127, v14, v127                              // 0000000074C8: 0AFEFF0E
	s_cmp_lt_i32 s87, 0                                        // 0000000074CC: BF048057
	s_cbranch_scc0 label_1670                                  // 0000000074D0: BF840199
	s_waitcnt lgkmcnt(0)                                       // 0000000074D4: BF8CC07F
	s_barrier                                                  // 0000000074D8: BF8A0000
	v_lshlrev_b32_e32 v41, 1, v0                               // 0000000074DC: 24520081
	s_mul_i32 s56, s7, 0x820                                   // 0000000074E0: 9238FF07 00000820
	v_add_u32_e32 v41, s56, v41                                // 0000000074E8: 68525238
	v_lshlrev_b32_e32 v41, 2, v41                              // 0000000074EC: 24525282
	v_mov_b32_e32 v32, v96                                     // 0000000074F0: 7E400360
	v_mov_b32_e32 v33, v100                                    // 0000000074F4: 7E420364
	ds_write_b64 v41, v[32:33]                                 // 0000000074F8: D89A0000 00002029
	v_mov_b32_e32 v32, v104                                    // 000000007500: 7E400368
	v_mov_b32_e32 v33, v108                                    // 000000007504: 7E42036C
	ds_write_b64 v41, v[32:33] offset:520                      // 000000007508: D89A0208 00002029
	v_mov_b32_e32 v32, v112                                    // 000000007510: 7E400370
	v_mov_b32_e32 v33, v116                                    // 000000007514: 7E420374
	ds_write_b64 v41, v[32:33] offset:1040                     // 000000007518: D89A0410 00002029
	v_mov_b32_e32 v32, v120                                    // 000000007520: 7E400378
	v_mov_b32_e32 v33, v124                                    // 000000007524: 7E42037C
	ds_write_b64 v41, v[32:33] offset:1560                     // 000000007528: D89A0618 00002029
	v_mov_b32_e32 v32, v97                                     // 000000007530: 7E400361
	v_mov_b32_e32 v33, v101                                    // 000000007534: 7E420365
	ds_write_b64 v41, v[32:33] offset:2080                     // 000000007538: D89A0820 00002029
	v_mov_b32_e32 v32, v105                                    // 000000007540: 7E400369
	v_mov_b32_e32 v33, v109                                    // 000000007544: 7E42036D
	ds_write_b64 v41, v[32:33] offset:2600                     // 000000007548: D89A0A28 00002029
	v_mov_b32_e32 v32, v113                                    // 000000007550: 7E400371
	v_mov_b32_e32 v33, v117                                    // 000000007554: 7E420375
	ds_write_b64 v41, v[32:33] offset:3120                     // 000000007558: D89A0C30 00002029
	v_mov_b32_e32 v32, v121                                    // 000000007560: 7E400379
	v_mov_b32_e32 v33, v125                                    // 000000007564: 7E42037D
	ds_write_b64 v41, v[32:33] offset:3640                     // 000000007568: D89A0E38 00002029
	v_mov_b32_e32 v32, v98                                     // 000000007570: 7E400362
	v_mov_b32_e32 v33, v102                                    // 000000007574: 7E420366
	ds_write_b64 v41, v[32:33] offset:4160                     // 000000007578: D89A1040 00002029
	v_mov_b32_e32 v32, v106                                    // 000000007580: 7E40036A
	v_mov_b32_e32 v33, v110                                    // 000000007584: 7E42036E
	ds_write_b64 v41, v[32:33] offset:4680                     // 000000007588: D89A1248 00002029
	v_mov_b32_e32 v32, v114                                    // 000000007590: 7E400372
	v_mov_b32_e32 v33, v118                                    // 000000007594: 7E420376
	ds_write_b64 v41, v[32:33] offset:5200                     // 000000007598: D89A1450 00002029
	v_mov_b32_e32 v32, v122                                    // 0000000075A0: 7E40037A
	v_mov_b32_e32 v33, v126                                    // 0000000075A4: 7E42037E
	ds_write_b64 v41, v[32:33] offset:5720                     // 0000000075A8: D89A1658 00002029
	v_mov_b32_e32 v32, v99                                     // 0000000075B0: 7E400363
	v_mov_b32_e32 v33, v103                                    // 0000000075B4: 7E420367
	ds_write_b64 v41, v[32:33] offset:6240                     // 0000000075B8: D89A1860 00002029
	v_mov_b32_e32 v32, v107                                    // 0000000075C0: 7E40036B
	v_mov_b32_e32 v33, v111                                    // 0000000075C4: 7E42036F
	ds_write_b64 v41, v[32:33] offset:6760                     // 0000000075C8: D89A1A68 00002029
	v_mov_b32_e32 v32, v115                                    // 0000000075D0: 7E400373
	v_mov_b32_e32 v33, v119                                    // 0000000075D4: 7E420377
	ds_write_b64 v41, v[32:33] offset:7280                     // 0000000075D8: D89A1C70 00002029
	v_mov_b32_e32 v32, v123                                    // 0000000075E0: 7E40037B
	v_mov_b32_e32 v33, v127                                    // 0000000075E4: 7E42037F
	ds_write_b64 v41, v[32:33] offset:7800                     // 0000000075E8: D89A1E78 00002029
	s_waitcnt lgkmcnt(0)                                       // 0000000075F0: BF8CC07F
	v_lshrrev_b32_e32 v32, 4, v0                               // 0000000075F4: 20400084
	v_mul_i32_i24_e32 v41, 32, v32                             // 0000000075F8: 0C5240A0
	v_and_b32_e32 v32, 15, v0                                  // 0000000075FC: 2640008F
	v_mul_i32_i24_e32 v33, 0x82, v32                           // 000000007600: 0C4240FF 00000082
	v_add_u32_e32 v41, v33, v41                                // 000000007608: 68525321
	s_mul_i32 s56, s7, 0x820                                   // 00000000760C: 9238FF07 00000820
	v_add_u32_e32 v41, s56, v41                                // 000000007614: 68525238
	v_lshlrev_b32_e32 v41, 2, v41                              // 000000007618: 24525282
	ds_read_b64 v[96:97], v41                                  // 00000000761C: D8EC0000 60000029
	ds_read_b64 v[98:99], v41 offset:8                         // 000000007624: D8EC0008 62000029
	ds_read_b64 v[100:101], v41 offset:16                      // 00000000762C: D8EC0010 64000029
	ds_read_b64 v[102:103], v41 offset:24                      // 000000007634: D8EC0018 66000029
	ds_read_b64 v[104:105], v41 offset:32                      // 00000000763C: D8EC0020 68000029
	ds_read_b64 v[106:107], v41 offset:40                      // 000000007644: D8EC0028 6A000029
	ds_read_b64 v[108:109], v41 offset:48                      // 00000000764C: D8EC0030 6C000029
	ds_read_b64 v[110:111], v41 offset:56                      // 000000007654: D8EC0038 6E000029
	ds_read_b64 v[112:113], v41 offset:64                      // 00000000765C: D8EC0040 70000029
	ds_read_b64 v[114:115], v41 offset:72                      // 000000007664: D8EC0048 72000029
	ds_read_b64 v[116:117], v41 offset:80                      // 00000000766C: D8EC0050 74000029
	ds_read_b64 v[118:119], v41 offset:88                      // 000000007674: D8EC0058 76000029
	ds_read_b64 v[120:121], v41 offset:96                      // 00000000767C: D8EC0060 78000029
	ds_read_b64 v[122:123], v41 offset:104                     // 000000007684: D8EC0068 7A000029
	ds_read_b64 v[124:125], v41 offset:112                     // 00000000768C: D8EC0070 7C000029
	ds_read_b64 v[126:127], v41 offset:120                     // 000000007694: D8EC0078 7E000029
	s_waitcnt lgkmcnt(0)                                       // 00000000769C: BF8CC07F
	v_cmp_u_f32_e64 s[34:35], v96, v96                         // 0000000076A0: D0480022 0002C160
	v_add3_u32 v28, v96, v31, 1                                // 0000000076A8: D1FF001C 02063F60
	v_cndmask_b32_e64 v32, v28, v30, s[34:35]                  // 0000000076B0: D1000020 008A3D1C
	v_cmp_u_f32_e64 s[34:35], v97, v97                         // 0000000076B8: D0480022 0002C361
	v_add3_u32 v28, v97, v31, 1                                // 0000000076C0: D1FF001C 02063F61
	v_cndmask_b32_e64 v33, v28, v30, s[34:35]                  // 0000000076C8: D1000021 008A3D1C
	v_perm_b32 v96, v33, v32, s52                              // 0000000076D0: D1ED0060 00D24121
	v_cmp_u_f32_e64 s[34:35], v98, v98                         // 0000000076D8: D0480022 0002C562
	v_add3_u32 v28, v98, v31, 1                                // 0000000076E0: D1FF001C 02063F62
	v_cndmask_b32_e64 v32, v28, v30, s[34:35]                  // 0000000076E8: D1000020 008A3D1C
	v_cmp_u_f32_e64 s[34:35], v99, v99                         // 0000000076F0: D0480022 0002C763
	v_add3_u32 v28, v99, v31, 1                                // 0000000076F8: D1FF001C 02063F63
	v_cndmask_b32_e64 v33, v28, v30, s[34:35]                  // 000000007700: D1000021 008A3D1C
	v_perm_b32 v97, v33, v32, s52                              // 000000007708: D1ED0061 00D24121
	v_cmp_u_f32_e64 s[34:35], v100, v100                       // 000000007710: D0480022 0002C964
	v_add3_u32 v28, v100, v31, 1                               // 000000007718: D1FF001C 02063F64
	v_cndmask_b32_e64 v32, v28, v30, s[34:35]                  // 000000007720: D1000020 008A3D1C
	v_cmp_u_f32_e64 s[34:35], v101, v101                       // 000000007728: D0480022 0002CB65
	v_add3_u32 v28, v101, v31, 1                               // 000000007730: D1FF001C 02063F65
	v_cndmask_b32_e64 v33, v28, v30, s[34:35]                  // 000000007738: D1000021 008A3D1C
	v_perm_b32 v98, v33, v32, s52                              // 000000007740: D1ED0062 00D24121
	v_cmp_u_f32_e64 s[34:35], v102, v102                       // 000000007748: D0480022 0002CD66
	v_add3_u32 v28, v102, v31, 1                               // 000000007750: D1FF001C 02063F66
	v_cndmask_b32_e64 v32, v28, v30, s[34:35]                  // 000000007758: D1000020 008A3D1C
	v_cmp_u_f32_e64 s[34:35], v103, v103                       // 000000007760: D0480022 0002CF67
	v_add3_u32 v28, v103, v31, 1                               // 000000007768: D1FF001C 02063F67
	v_cndmask_b32_e64 v33, v28, v30, s[34:35]                  // 000000007770: D1000021 008A3D1C
	v_perm_b32 v99, v33, v32, s52                              // 000000007778: D1ED0063 00D24121
	v_cmp_u_f32_e64 s[34:35], v104, v104                       // 000000007780: D0480022 0002D168
	v_add3_u32 v28, v104, v31, 1                               // 000000007788: D1FF001C 02063F68
	v_cndmask_b32_e64 v32, v28, v30, s[34:35]                  // 000000007790: D1000020 008A3D1C
	v_cmp_u_f32_e64 s[34:35], v105, v105                       // 000000007798: D0480022 0002D369
	v_add3_u32 v28, v105, v31, 1                               // 0000000077A0: D1FF001C 02063F69
	v_cndmask_b32_e64 v33, v28, v30, s[34:35]                  // 0000000077A8: D1000021 008A3D1C
	v_perm_b32 v100, v33, v32, s52                             // 0000000077B0: D1ED0064 00D24121
	v_cmp_u_f32_e64 s[34:35], v106, v106                       // 0000000077B8: D0480022 0002D56A
	v_add3_u32 v28, v106, v31, 1                               // 0000000077C0: D1FF001C 02063F6A
	v_cndmask_b32_e64 v32, v28, v30, s[34:35]                  // 0000000077C8: D1000020 008A3D1C
	v_cmp_u_f32_e64 s[34:35], v107, v107                       // 0000000077D0: D0480022 0002D76B
	v_add3_u32 v28, v107, v31, 1                               // 0000000077D8: D1FF001C 02063F6B
	v_cndmask_b32_e64 v33, v28, v30, s[34:35]                  // 0000000077E0: D1000021 008A3D1C
	v_perm_b32 v101, v33, v32, s52                             // 0000000077E8: D1ED0065 00D24121
	v_cmp_u_f32_e64 s[34:35], v108, v108                       // 0000000077F0: D0480022 0002D96C
	v_add3_u32 v28, v108, v31, 1                               // 0000000077F8: D1FF001C 02063F6C
	v_cndmask_b32_e64 v32, v28, v30, s[34:35]                  // 000000007800: D1000020 008A3D1C
	v_cmp_u_f32_e64 s[34:35], v109, v109                       // 000000007808: D0480022 0002DB6D
	v_add3_u32 v28, v109, v31, 1                               // 000000007810: D1FF001C 02063F6D
	v_cndmask_b32_e64 v33, v28, v30, s[34:35]                  // 000000007818: D1000021 008A3D1C
	v_perm_b32 v102, v33, v32, s52                             // 000000007820: D1ED0066 00D24121
	v_cmp_u_f32_e64 s[34:35], v110, v110                       // 000000007828: D0480022 0002DD6E
	v_add3_u32 v28, v110, v31, 1                               // 000000007830: D1FF001C 02063F6E
	v_cndmask_b32_e64 v32, v28, v30, s[34:35]                  // 000000007838: D1000020 008A3D1C
	v_cmp_u_f32_e64 s[34:35], v111, v111                       // 000000007840: D0480022 0002DF6F
	v_add3_u32 v28, v111, v31, 1                               // 000000007848: D1FF001C 02063F6F
	v_cndmask_b32_e64 v33, v28, v30, s[34:35]                  // 000000007850: D1000021 008A3D1C
	v_perm_b32 v103, v33, v32, s52                             // 000000007858: D1ED0067 00D24121
	v_cmp_u_f32_e64 s[34:35], v112, v112                       // 000000007860: D0480022 0002E170
	v_add3_u32 v28, v112, v31, 1                               // 000000007868: D1FF001C 02063F70
	v_cndmask_b32_e64 v32, v28, v30, s[34:35]                  // 000000007870: D1000020 008A3D1C
	v_cmp_u_f32_e64 s[34:35], v113, v113                       // 000000007878: D0480022 0002E371
	v_add3_u32 v28, v113, v31, 1                               // 000000007880: D1FF001C 02063F71
	v_cndmask_b32_e64 v33, v28, v30, s[34:35]                  // 000000007888: D1000021 008A3D1C
	v_perm_b32 v104, v33, v32, s52                             // 000000007890: D1ED0068 00D24121
	v_cmp_u_f32_e64 s[34:35], v114, v114                       // 000000007898: D0480022 0002E572
	v_add3_u32 v28, v114, v31, 1                               // 0000000078A0: D1FF001C 02063F72
	v_cndmask_b32_e64 v32, v28, v30, s[34:35]                  // 0000000078A8: D1000020 008A3D1C
	v_cmp_u_f32_e64 s[34:35], v115, v115                       // 0000000078B0: D0480022 0002E773
	v_add3_u32 v28, v115, v31, 1                               // 0000000078B8: D1FF001C 02063F73
	v_cndmask_b32_e64 v33, v28, v30, s[34:35]                  // 0000000078C0: D1000021 008A3D1C
	v_perm_b32 v105, v33, v32, s52                             // 0000000078C8: D1ED0069 00D24121
	v_cmp_u_f32_e64 s[34:35], v116, v116                       // 0000000078D0: D0480022 0002E974
	v_add3_u32 v28, v116, v31, 1                               // 0000000078D8: D1FF001C 02063F74
	v_cndmask_b32_e64 v32, v28, v30, s[34:35]                  // 0000000078E0: D1000020 008A3D1C
	v_cmp_u_f32_e64 s[34:35], v117, v117                       // 0000000078E8: D0480022 0002EB75
	v_add3_u32 v28, v117, v31, 1                               // 0000000078F0: D1FF001C 02063F75
	v_cndmask_b32_e64 v33, v28, v30, s[34:35]                  // 0000000078F8: D1000021 008A3D1C
	v_perm_b32 v106, v33, v32, s52                             // 000000007900: D1ED006A 00D24121
	v_cmp_u_f32_e64 s[34:35], v118, v118                       // 000000007908: D0480022 0002ED76
	v_add3_u32 v28, v118, v31, 1                               // 000000007910: D1FF001C 02063F76
	v_cndmask_b32_e64 v32, v28, v30, s[34:35]                  // 000000007918: D1000020 008A3D1C
	v_cmp_u_f32_e64 s[34:35], v119, v119                       // 000000007920: D0480022 0002EF77
	v_add3_u32 v28, v119, v31, 1                               // 000000007928: D1FF001C 02063F77
	v_cndmask_b32_e64 v33, v28, v30, s[34:35]                  // 000000007930: D1000021 008A3D1C
	v_perm_b32 v107, v33, v32, s52                             // 000000007938: D1ED006B 00D24121
	v_cmp_u_f32_e64 s[34:35], v120, v120                       // 000000007940: D0480022 0002F178
	v_add3_u32 v28, v120, v31, 1                               // 000000007948: D1FF001C 02063F78
	v_cndmask_b32_e64 v32, v28, v30, s[34:35]                  // 000000007950: D1000020 008A3D1C
	v_cmp_u_f32_e64 s[34:35], v121, v121                       // 000000007958: D0480022 0002F379
	v_add3_u32 v28, v121, v31, 1                               // 000000007960: D1FF001C 02063F79
	v_cndmask_b32_e64 v33, v28, v30, s[34:35]                  // 000000007968: D1000021 008A3D1C
	v_perm_b32 v108, v33, v32, s52                             // 000000007970: D1ED006C 00D24121
	v_cmp_u_f32_e64 s[34:35], v122, v122                       // 000000007978: D0480022 0002F57A
	v_add3_u32 v28, v122, v31, 1                               // 000000007980: D1FF001C 02063F7A
	v_cndmask_b32_e64 v32, v28, v30, s[34:35]                  // 000000007988: D1000020 008A3D1C
	v_cmp_u_f32_e64 s[34:35], v123, v123                       // 000000007990: D0480022 0002F77B
	v_add3_u32 v28, v123, v31, 1                               // 000000007998: D1FF001C 02063F7B
	v_cndmask_b32_e64 v33, v28, v30, s[34:35]                  // 0000000079A0: D1000021 008A3D1C
	v_perm_b32 v109, v33, v32, s52                             // 0000000079A8: D1ED006D 00D24121
	v_cmp_u_f32_e64 s[34:35], v124, v124                       // 0000000079B0: D0480022 0002F97C
	v_add3_u32 v28, v124, v31, 1                               // 0000000079B8: D1FF001C 02063F7C
	v_cndmask_b32_e64 v32, v28, v30, s[34:35]                  // 0000000079C0: D1000020 008A3D1C
	v_cmp_u_f32_e64 s[34:35], v125, v125                       // 0000000079C8: D0480022 0002FB7D
	v_add3_u32 v28, v125, v31, 1                               // 0000000079D0: D1FF001C 02063F7D
	v_cndmask_b32_e64 v33, v28, v30, s[34:35]                  // 0000000079D8: D1000021 008A3D1C
	v_perm_b32 v110, v33, v32, s52                             // 0000000079E0: D1ED006E 00D24121
	v_cmp_u_f32_e64 s[34:35], v126, v126                       // 0000000079E8: D0480022 0002FD7E
	v_add3_u32 v28, v126, v31, 1                               // 0000000079F0: D1FF001C 02063F7E
	v_cndmask_b32_e64 v32, v28, v30, s[34:35]                  // 0000000079F8: D1000020 008A3D1C
	v_cmp_u_f32_e64 s[34:35], v127, v127                       // 000000007A00: D0480022 0002FF7F
	v_add3_u32 v28, v127, v31, 1                               // 000000007A08: D1FF001C 02063F7F
	v_cndmask_b32_e64 v33, v28, v30, s[34:35]                  // 000000007A10: D1000021 008A3D1C
	v_perm_b32 v111, v33, v32, s52                             // 000000007A18: D1ED006F 00D24121
	v_lshlrev_b32_e32 v17, 2, v0                               // 000000007A20: 24220082
	s_mul_i32 s56, s7, 0x100                                   // 000000007A24: 9238FF07 00000100
	v_add_u32_e64 v17, v17, s56                                // 000000007A2C: D1340011 00007111
	buffer_store_dword v96, v17, s[88:91], 0 offen             // 000000007A34: E0701000 80166011
	v_add_u32_e32 v17, 0x400, v17                              // 000000007A3C: 682222FF 00000400
	buffer_store_dword v97, v17, s[88:91], 0 offen             // 000000007A44: E0701000 80166111
	v_add_u32_e32 v17, 0x400, v17                              // 000000007A4C: 682222FF 00000400
	buffer_store_dword v98, v17, s[88:91], 0 offen             // 000000007A54: E0701000 80166211
	v_add_u32_e32 v17, 0x400, v17                              // 000000007A5C: 682222FF 00000400
	buffer_store_dword v99, v17, s[88:91], 0 offen             // 000000007A64: E0701000 80166311
	v_add_u32_e32 v17, 0x400, v17                              // 000000007A6C: 682222FF 00000400
	buffer_store_dword v100, v17, s[88:91], 0 offen            // 000000007A74: E0701000 80166411
	v_add_u32_e32 v17, 0x400, v17                              // 000000007A7C: 682222FF 00000400
	buffer_store_dword v101, v17, s[88:91], 0 offen            // 000000007A84: E0701000 80166511
	v_add_u32_e32 v17, 0x400, v17                              // 000000007A8C: 682222FF 00000400
	buffer_store_dword v102, v17, s[88:91], 0 offen            // 000000007A94: E0701000 80166611
	v_add_u32_e32 v17, 0x400, v17                              // 000000007A9C: 682222FF 00000400
	buffer_store_dword v103, v17, s[88:91], 0 offen            // 000000007AA4: E0701000 80166711
	v_add_u32_e32 v17, 0x400, v17                              // 000000007AAC: 682222FF 00000400
	buffer_store_dword v104, v17, s[88:91], 0 offen            // 000000007AB4: E0701000 80166811
	v_add_u32_e32 v17, 0x400, v17                              // 000000007ABC: 682222FF 00000400
	buffer_store_dword v105, v17, s[88:91], 0 offen            // 000000007AC4: E0701000 80166911
	v_add_u32_e32 v17, 0x400, v17                              // 000000007ACC: 682222FF 00000400
	buffer_store_dword v106, v17, s[88:91], 0 offen            // 000000007AD4: E0701000 80166A11
	v_add_u32_e32 v17, 0x400, v17                              // 000000007ADC: 682222FF 00000400
	buffer_store_dword v107, v17, s[88:91], 0 offen            // 000000007AE4: E0701000 80166B11
	v_add_u32_e32 v17, 0x400, v17                              // 000000007AEC: 682222FF 00000400
	buffer_store_dword v108, v17, s[88:91], 0 offen            // 000000007AF4: E0701000 80166C11
	v_add_u32_e32 v17, 0x400, v17                              // 000000007AFC: 682222FF 00000400
	buffer_store_dword v109, v17, s[88:91], 0 offen            // 000000007B04: E0701000 80166D11
	v_add_u32_e32 v17, 0x400, v17                              // 000000007B0C: 682222FF 00000400
	buffer_store_dword v110, v17, s[88:91], 0 offen            // 000000007B14: E0701000 80166E11
	v_add_u32_e32 v17, 0x400, v17                              // 000000007B1C: 682222FF 00000400
	buffer_store_dword v111, v17, s[88:91], 0 offen            // 000000007B24: E0701000 80166F11
	v_add_u32_e32 v17, 0x400, v17                              // 000000007B2C: 682222FF 00000400
	s_branch label_1725                                        // 000000007B34: BF8200B5

0000000000007b38 <label_1670>:
	s_waitcnt lgkmcnt(0)                                       // 000000007B38: BF8CC07F
	s_barrier                                                  // 000000007B3C: BF8A0000
	v_lshlrev_b32_e32 v41, 1, v0                               // 000000007B40: 24520081
	s_mul_i32 s56, s7, 0x820                                   // 000000007B44: 9238FF07 00000820
	v_add_u32_e32 v41, s56, v41                                // 000000007B4C: 68525238
	v_lshlrev_b32_e32 v41, 2, v41                              // 000000007B50: 24525282
	v_mov_b32_e32 v32, v96                                     // 000000007B54: 7E400360
	v_mov_b32_e32 v33, v100                                    // 000000007B58: 7E420364
	ds_write_b64 v41, v[32:33]                                 // 000000007B5C: D89A0000 00002029
	v_mov_b32_e32 v32, v104                                    // 000000007B64: 7E400368
	v_mov_b32_e32 v33, v108                                    // 000000007B68: 7E42036C
	ds_write_b64 v41, v[32:33] offset:520                      // 000000007B6C: D89A0208 00002029
	v_mov_b32_e32 v32, v112                                    // 000000007B74: 7E400370
	v_mov_b32_e32 v33, v116                                    // 000000007B78: 7E420374
	ds_write_b64 v41, v[32:33] offset:1040                     // 000000007B7C: D89A0410 00002029
	v_mov_b32_e32 v32, v120                                    // 000000007B84: 7E400378
	v_mov_b32_e32 v33, v124                                    // 000000007B88: 7E42037C
	ds_write_b64 v41, v[32:33] offset:1560                     // 000000007B8C: D89A0618 00002029
	v_mov_b32_e32 v32, v97                                     // 000000007B94: 7E400361
	v_mov_b32_e32 v33, v101                                    // 000000007B98: 7E420365
	ds_write_b64 v41, v[32:33] offset:2080                     // 000000007B9C: D89A0820 00002029
	v_mov_b32_e32 v32, v105                                    // 000000007BA4: 7E400369
	v_mov_b32_e32 v33, v109                                    // 000000007BA8: 7E42036D
	ds_write_b64 v41, v[32:33] offset:2600                     // 000000007BAC: D89A0A28 00002029
	v_mov_b32_e32 v32, v113                                    // 000000007BB4: 7E400371
	v_mov_b32_e32 v33, v117                                    // 000000007BB8: 7E420375
	ds_write_b64 v41, v[32:33] offset:3120                     // 000000007BBC: D89A0C30 00002029
	v_mov_b32_e32 v32, v121                                    // 000000007BC4: 7E400379
	v_mov_b32_e32 v33, v125                                    // 000000007BC8: 7E42037D
	ds_write_b64 v41, v[32:33] offset:3640                     // 000000007BCC: D89A0E38 00002029
	v_mov_b32_e32 v32, v98                                     // 000000007BD4: 7E400362
	v_mov_b32_e32 v33, v102                                    // 000000007BD8: 7E420366
	ds_write_b64 v41, v[32:33] offset:4160                     // 000000007BDC: D89A1040 00002029
	v_mov_b32_e32 v32, v106                                    // 000000007BE4: 7E40036A
	v_mov_b32_e32 v33, v110                                    // 000000007BE8: 7E42036E
	ds_write_b64 v41, v[32:33] offset:4680                     // 000000007BEC: D89A1248 00002029
	v_mov_b32_e32 v32, v114                                    // 000000007BF4: 7E400372
	v_mov_b32_e32 v33, v118                                    // 000000007BF8: 7E420376
	ds_write_b64 v41, v[32:33] offset:5200                     // 000000007BFC: D89A1450 00002029
	v_mov_b32_e32 v32, v122                                    // 000000007C04: 7E40037A
	v_mov_b32_e32 v33, v126                                    // 000000007C08: 7E42037E
	ds_write_b64 v41, v[32:33] offset:5720                     // 000000007C0C: D89A1658 00002029
	v_mov_b32_e32 v32, v99                                     // 000000007C14: 7E400363
	v_mov_b32_e32 v33, v103                                    // 000000007C18: 7E420367
	ds_write_b64 v41, v[32:33] offset:6240                     // 000000007C1C: D89A1860 00002029
	v_mov_b32_e32 v32, v107                                    // 000000007C24: 7E40036B
	v_mov_b32_e32 v33, v111                                    // 000000007C28: 7E42036F
	ds_write_b64 v41, v[32:33] offset:6760                     // 000000007C2C: D89A1A68 00002029
	v_mov_b32_e32 v32, v115                                    // 000000007C34: 7E400373
	v_mov_b32_e32 v33, v119                                    // 000000007C38: 7E420377
	ds_write_b64 v41, v[32:33] offset:7280                     // 000000007C3C: D89A1C70 00002029
	v_mov_b32_e32 v32, v123                                    // 000000007C44: 7E40037B
	v_mov_b32_e32 v33, v127                                    // 000000007C48: 7E42037F
	ds_write_b64 v41, v[32:33] offset:7800                     // 000000007C4C: D89A1E78 00002029
	s_waitcnt lgkmcnt(0)                                       // 000000007C54: BF8CC07F
	v_lshrrev_b32_e32 v32, 4, v0                               // 000000007C58: 20400084
	v_mul_i32_i24_e32 v41, 32, v32                             // 000000007C5C: 0C5240A0
	v_and_b32_e32 v32, 15, v0                                  // 000000007C60: 2640008F
	v_mul_i32_i24_e32 v33, 0x82, v32                           // 000000007C64: 0C4240FF 00000082
	v_add_u32_e32 v41, v33, v41                                // 000000007C6C: 68525321
	s_mul_i32 s56, s7, 0x820                                   // 000000007C70: 9238FF07 00000820
	v_add_u32_e32 v41, s56, v41                                // 000000007C78: 68525238
	v_lshlrev_b32_e32 v41, 2, v41                              // 000000007C7C: 24525282
	ds_read_b64 v[96:97], v41                                  // 000000007C80: D8EC0000 60000029
	ds_read_b64 v[98:99], v41 offset:8                         // 000000007C88: D8EC0008 62000029
	ds_read_b64 v[100:101], v41 offset:16                      // 000000007C90: D8EC0010 64000029
	ds_read_b64 v[102:103], v41 offset:24                      // 000000007C98: D8EC0018 66000029
	ds_read_b64 v[104:105], v41 offset:32                      // 000000007CA0: D8EC0020 68000029
	ds_read_b64 v[106:107], v41 offset:40                      // 000000007CA8: D8EC0028 6A000029
	ds_read_b64 v[108:109], v41 offset:48                      // 000000007CB0: D8EC0030 6C000029
	ds_read_b64 v[110:111], v41 offset:56                      // 000000007CB8: D8EC0038 6E000029
	ds_read_b64 v[112:113], v41 offset:64                      // 000000007CC0: D8EC0040 70000029
	ds_read_b64 v[114:115], v41 offset:72                      // 000000007CC8: D8EC0048 72000029
	ds_read_b64 v[116:117], v41 offset:80                      // 000000007CD0: D8EC0050 74000029
	ds_read_b64 v[118:119], v41 offset:88                      // 000000007CD8: D8EC0058 76000029
	ds_read_b64 v[120:121], v41 offset:96                      // 000000007CE0: D8EC0060 78000029
	ds_read_b64 v[122:123], v41 offset:104                     // 000000007CE8: D8EC0068 7A000029
	ds_read_b64 v[124:125], v41 offset:112                     // 000000007CF0: D8EC0070 7C000029
	ds_read_b64 v[126:127], v41 offset:120                     // 000000007CF8: D8EC0078 7E000029
	s_waitcnt lgkmcnt(0)                                       // 000000007D00: BF8CC07F
	buffer_store_dwordx2 v[96:97], v17, s[8:11], 0 offen       // 000000007D04: E0741000 80026011
	v_add_u32_e32 v17, 0x800, v17                              // 000000007D0C: 682222FF 00000800
	buffer_store_dwordx2 v[98:99], v17, s[8:11], 0 offen       // 000000007D14: E0741000 80026211
	v_add_u32_e32 v17, 0x800, v17                              // 000000007D1C: 682222FF 00000800
	buffer_store_dwordx2 v[100:101], v17, s[8:11], 0 offen     // 000000007D24: E0741000 80026411
	v_add_u32_e32 v17, 0x800, v17                              // 000000007D2C: 682222FF 00000800
	buffer_store_dwordx2 v[102:103], v17, s[8:11], 0 offen     // 000000007D34: E0741000 80026611
	v_add_u32_e32 v17, 0x800, v17                              // 000000007D3C: 682222FF 00000800
	buffer_store_dwordx2 v[104:105], v17, s[8:11], 0 offen     // 000000007D44: E0741000 80026811
	v_add_u32_e32 v17, 0x800, v17                              // 000000007D4C: 682222FF 00000800
	buffer_store_dwordx2 v[106:107], v17, s[8:11], 0 offen     // 000000007D54: E0741000 80026A11
	v_add_u32_e32 v17, 0x800, v17                              // 000000007D5C: 682222FF 00000800
	buffer_store_dwordx2 v[108:109], v17, s[8:11], 0 offen     // 000000007D64: E0741000 80026C11
	v_add_u32_e32 v17, 0x800, v17                              // 000000007D6C: 682222FF 00000800
	buffer_store_dwordx2 v[110:111], v17, s[8:11], 0 offen     // 000000007D74: E0741000 80026E11
	v_add_u32_e32 v17, 0x800, v17                              // 000000007D7C: 682222FF 00000800
	buffer_store_dwordx2 v[112:113], v17, s[8:11], 0 offen     // 000000007D84: E0741000 80027011
	v_add_u32_e32 v17, 0x800, v17                              // 000000007D8C: 682222FF 00000800
	buffer_store_dwordx2 v[114:115], v17, s[8:11], 0 offen     // 000000007D94: E0741000 80027211
	v_add_u32_e32 v17, 0x800, v17                              // 000000007D9C: 682222FF 00000800
	buffer_store_dwordx2 v[116:117], v17, s[8:11], 0 offen     // 000000007DA4: E0741000 80027411
	v_add_u32_e32 v17, 0x800, v17                              // 000000007DAC: 682222FF 00000800
	buffer_store_dwordx2 v[118:119], v17, s[8:11], 0 offen     // 000000007DB4: E0741000 80027611
	v_add_u32_e32 v17, 0x800, v17                              // 000000007DBC: 682222FF 00000800
	buffer_store_dwordx2 v[120:121], v17, s[8:11], 0 offen     // 000000007DC4: E0741000 80027811
	v_add_u32_e32 v17, 0x800, v17                              // 000000007DCC: 682222FF 00000800
	buffer_store_dwordx2 v[122:123], v17, s[8:11], 0 offen     // 000000007DD4: E0741000 80027A11
	v_add_u32_e32 v17, 0x800, v17                              // 000000007DDC: 682222FF 00000800
	buffer_store_dwordx2 v[124:125], v17, s[8:11], 0 offen     // 000000007DE4: E0741000 80027C11
	v_add_u32_e32 v17, 0x800, v17                              // 000000007DEC: 682222FF 00000800
	buffer_store_dwordx2 v[126:127], v17, s[8:11], 0 offen     // 000000007DF4: E0741000 80027E11
	v_add_u32_e32 v17, 0x800, v17                              // 000000007DFC: 682222FF 00000800
	buffer_store_dword v42, v16, s[12:15], 0 offen             // 000000007E04: E0701000 80032A10

0000000000007e0c <label_1725>:
	s_mov_b32 s56, 32                                          // 000000007E0C: BEB800A0
	s_addk_i32 s85, 0x1                                        // 000000007E10: B7550001
	s_cmp_lt_i32 s85, s86                                      // 000000007E14: BF045655
	s_cbranch_scc1 label_0029                                  // 000000007E18: BF85E922

0000000000007e1c <label_1729>:
	s_waitcnt vmcnt(0) expcnt(0) lgkmcnt(0)                    // 000000007E1C: BF8C0000
	s_endpgm                                                   // 000000007E20: BF810000
